;; amdgpu-corpus repo=ROCm/rocFFT kind=compiled arch=gfx1030 opt=O3
	.text
	.amdgcn_target "amdgcn-amd-amdhsa--gfx1030"
	.amdhsa_code_object_version 6
	.protected	bluestein_single_back_len476_dim1_sp_op_CI_CI ; -- Begin function bluestein_single_back_len476_dim1_sp_op_CI_CI
	.globl	bluestein_single_back_len476_dim1_sp_op_CI_CI
	.p2align	8
	.type	bluestein_single_back_len476_dim1_sp_op_CI_CI,@function
bluestein_single_back_len476_dim1_sp_op_CI_CI: ; @bluestein_single_back_len476_dim1_sp_op_CI_CI
; %bb.0:
	s_load_dwordx4 s[0:3], s[4:5], 0x28
	v_mul_u32_u24_e32 v1, 0x788, v0
	v_lshrrev_b32_e32 v1, 16, v1
	v_mad_u64_u32 v[44:45], null, s6, 3, v[1:2]
	v_mov_b32_e32 v45, 0
                                        ; kill: def $vgpr2 killed $sgpr0 killed $exec
	s_waitcnt lgkmcnt(0)
	v_cmp_gt_u64_e32 vcc_lo, s[0:1], v[44:45]
	s_and_saveexec_b32 s0, vcc_lo
	s_cbranch_execz .LBB0_15
; %bb.1:
	v_mul_hi_u32 v2, 0xaaaaaaab, v44
	v_mul_lo_u16 v1, v1, 34
	s_clause 0x1
	s_load_dwordx2 s[12:13], s[4:5], 0x0
	s_load_dwordx2 s[14:15], s[4:5], 0x38
	v_sub_nc_u16 v0, v0, v1
	v_lshrrev_b32_e32 v2, 1, v2
	v_and_b32_e32 v97, 0xffff, v0
	v_cmp_gt_u16_e32 vcc_lo, 28, v0
	v_lshl_add_u32 v2, v2, 1, v2
	v_lshlrev_b32_e32 v94, 3, v97
	v_or_b32_e32 v95, 0xe0, v97
	v_sub_nc_u32_e32 v1, v44, v2
	v_or_b32_e32 v93, 0x1c0, v97
	v_mul_u32_u24_e32 v96, 0x1dc, v1
	v_lshlrev_b32_e32 v98, 3, v96
	s_and_saveexec_b32 s1, vcc_lo
	s_cbranch_execz .LBB0_3
; %bb.2:
	s_load_dwordx2 s[6:7], s[4:5], 0x18
	v_lshlrev_b32_e32 v10, 3, v93
	s_waitcnt lgkmcnt(0)
	global_load_dwordx2 v[0:1], v94, s[12:13]
	v_add_co_u32 v42, s0, s12, v94
	v_add_co_ci_u32_e64 v43, null, s13, 0, s0
	v_lshl_add_u32 v72, v97, 3, v98
	s_load_dwordx4 s[8:11], s[6:7], 0x0
	s_clause 0x1
	global_load_dwordx2 v[8:9], v94, s[12:13] offset:1792
	global_load_dwordx2 v[10:11], v10, s[12:13]
	s_waitcnt lgkmcnt(0)
	v_mad_u64_u32 v[2:3], null, s10, v44, 0
	v_mad_u64_u32 v[4:5], null, s8, v97, 0
	;; [unrolled: 1-line block ×3, first 2 shown]
	s_mul_i32 s0, s9, 0xe0
	s_mul_hi_u32 s6, s8, 0xe0
	s_mul_i32 s7, s8, 0xe0
	s_add_i32 s6, s6, s0
	v_mad_u64_u32 v[12:13], null, s11, v44, v[3:4]
	v_mad_u64_u32 v[15:16], null, s9, v97, v[5:6]
	v_mad_u64_u32 v[13:14], null, s8, v93, 0
	v_mov_b32_e32 v3, v12
	v_mov_b32_e32 v5, v15
	v_lshlrev_b64 v[2:3], 3, v[2:3]
	v_lshlrev_b64 v[4:5], 3, v[4:5]
	v_add_co_u32 v18, s0, s2, v2
	v_add_co_ci_u32_e64 v19, s0, s3, v3, s0
	v_add_co_u32 v2, s0, v18, v4
	v_add_co_ci_u32_e64 v3, s0, v19, v5, s0
	s_waitcnt vmcnt(1)
	v_mad_u64_u32 v[16:17], null, s9, v95, v[7:8]
	v_mov_b32_e32 v7, v14
	v_mad_u64_u32 v[14:15], null, s9, v93, v[7:8]
	v_mov_b32_e32 v7, v16
	v_lshlrev_b64 v[4:5], 3, v[6:7]
	v_add_co_u32 v6, s0, v2, s7
	v_add_co_ci_u32_e64 v7, s0, s6, v3, s0
	v_lshlrev_b64 v[12:13], 3, v[13:14]
	v_add_co_u32 v14, s0, v6, s7
	v_add_co_ci_u32_e64 v15, s0, s6, v7, s0
	v_add_co_u32 v4, s0, v18, v4
	v_add_co_ci_u32_e64 v5, s0, v19, v5, s0
	;; [unrolled: 2-line block ×5, first 2 shown]
	s_clause 0x2
	global_load_dwordx2 v[2:3], v[2:3], off
	global_load_dwordx2 v[4:5], v[4:5], off
	;; [unrolled: 1-line block ×3, first 2 shown]
	s_clause 0x2
	global_load_dwordx2 v[26:27], v94, s[12:13] offset:224
	global_load_dwordx2 v[28:29], v94, s[12:13] offset:448
	;; [unrolled: 1-line block ×3, first 2 shown]
	global_load_dwordx2 v[6:7], v[6:7], off
	s_clause 0x3
	global_load_dwordx2 v[34:35], v94, s[12:13] offset:896
	global_load_dwordx2 v[36:37], v94, s[12:13] offset:1120
	;; [unrolled: 1-line block ×4, first 2 shown]
	s_clause 0x1
	global_load_dwordx2 v[14:15], v[14:15], off
	global_load_dwordx2 v[16:17], v[16:17], off
	v_add_co_u32 v20, s0, v18, s7
	v_add_co_ci_u32_e64 v21, s0, s6, v19, s0
	global_load_dwordx2 v[18:19], v[18:19], off
	v_add_co_u32 v22, s0, v20, s7
	v_add_co_ci_u32_e64 v23, s0, s6, v21, s0
	v_add_co_u32 v24, s0, v22, s7
	v_add_co_ci_u32_e64 v25, s0, s6, v23, s0
	;; [unrolled: 2-line block ×3, first 2 shown]
	v_mad_u64_u32 v[32:33], null, 0x1c0, s8, v[24:25]
	v_add_co_u32 v56, s0, v32, s7
	s_waitcnt vmcnt(6)
	v_mad_u64_u32 v[45:46], null, 0x1c0, s9, v[33:34]
	global_load_dwordx2 v[46:47], v94, s[12:13] offset:2016
	global_load_dwordx2 v[20:21], v[20:21], off
	s_clause 0x3
	global_load_dwordx2 v[48:49], v[42:43], off offset:192
	global_load_dwordx2 v[50:51], v[42:43], off offset:416
	;; [unrolled: 1-line block ×4, first 2 shown]
	global_load_dwordx2 v[22:23], v[22:23], off
	global_load_dwordx2 v[24:25], v[24:25], off
	v_mul_f32_e32 v70, v3, v1
	v_mul_f32_e32 v71, v2, v1
	v_mul_f32_e32 v1, v5, v9
	v_mul_f32_e32 v75, v4, v9
	v_mov_b32_e32 v33, v45
	v_fmac_f32_e32 v70, v2, v0
	v_fma_f32 v71, v3, v0, -v71
	v_mul_f32_e32 v0, v6, v27
	v_mul_f32_e32 v3, v7, v27
	v_add_co_ci_u32_e64 v57, s0, s6, v33, s0
	v_add_co_u32 v58, s0, v56, s7
	global_load_dwordx2 v[32:33], v[32:33], off
	v_add_co_ci_u32_e64 v59, s0, s6, v57, s0
	v_add_co_u32 v60, s0, v58, s7
	global_load_dwordx2 v[56:57], v[56:57], off
	;; [unrolled: 3-line block ×5, first 2 shown]
	v_add_co_ci_u32_e64 v67, s0, s6, v65, s0
	global_load_dwordx2 v[64:65], v[64:65], off
	s_clause 0x1
	global_load_dwordx2 v[68:69], v[42:43], off offset:1088
	global_load_dwordx2 v[42:43], v[42:43], off offset:1312
	global_load_dwordx2 v[66:67], v[66:67], off
	v_fmac_f32_e32 v1, v4, v8
	v_fma_f32 v4, v7, v26, -v0
	s_waitcnt vmcnt(19)
	v_mul_f32_e32 v0, v14, v29
	v_mul_f32_e32 v9, v13, v11
	v_fmac_f32_e32 v3, v6, v26
	v_mul_f32_e32 v76, v12, v11
	s_waitcnt vmcnt(17)
	v_mul_f32_e32 v11, v19, v35
	v_fma_f32 v6, v15, v28, -v0
	v_mul_f32_e32 v0, v18, v35
	v_fmac_f32_e32 v9, v12, v10
	v_fma_f32 v2, v5, v8, -v75
	v_mul_f32_e32 v5, v15, v29
	v_fmac_f32_e32 v11, v18, v34
	v_fma_f32 v12, v19, v34, -v0
	v_mul_f32_e32 v7, v17, v31
	v_mul_f32_e32 v8, v16, v31
	v_add_nc_u32_e32 v45, v98, v94
	v_fmac_f32_e32 v5, v14, v28
	ds_write_b64 v72, v[70:71]
	v_fmac_f32_e32 v7, v16, v30
	v_fma_f32 v8, v17, v30, -v8
	ds_write2_b64 v45, v[3:4], v[5:6] offset0:28 offset1:56
	ds_write2_b64 v45, v[7:8], v[11:12] offset0:84 offset1:112
	v_add_nc_u32_e32 v73, 0x400, v45
	v_add_nc_u32_e32 v74, 0x800, v45
	v_fma_f32 v10, v13, v10, -v76
	s_waitcnt vmcnt(15)
	v_mul_f32_e32 v0, v20, v37
	v_mul_f32_e32 v14, v21, v37
	v_fma_f32 v15, v21, v36, -v0
	s_waitcnt vmcnt(9)
	v_mul_f32_e32 v18, v25, v41
	v_mul_f32_e32 v0, v24, v41
	;; [unrolled: 1-line block ×4, first 2 shown]
	v_fmac_f32_e32 v14, v20, v36
	v_fmac_f32_e32 v18, v24, v40
	v_fma_f32 v19, v25, v40, -v0
	v_fmac_f32_e32 v16, v22, v38
	v_fma_f32 v17, v23, v38, -v17
	ds_write2_b64 v45, v[18:19], v[1:2] offset0:196 offset1:224
	ds_write2_b64 v45, v[14:15], v[16:17] offset0:140 offset1:168
	s_waitcnt vmcnt(8)
	v_mul_f32_e32 v4, v32, v47
	v_mul_f32_e32 v0, v33, v47
	s_waitcnt vmcnt(7)
	v_mul_f32_e32 v2, v56, v49
	v_fma_f32 v1, v33, v46, -v4
	v_mul_f32_e32 v3, v57, v49
	v_fmac_f32_e32 v0, v32, v46
	v_fma_f32 v4, v57, v48, -v2
	s_waitcnt vmcnt(6)
	v_mul_f32_e32 v2, v58, v51
	v_mul_f32_e32 v5, v59, v51
	v_fmac_f32_e32 v3, v56, v48
	s_waitcnt vmcnt(5)
	v_mul_f32_e32 v7, v61, v53
	v_mul_f32_e32 v8, v60, v53
	v_fma_f32 v6, v59, v50, -v2
	v_fmac_f32_e32 v5, v58, v50
	s_waitcnt vmcnt(4)
	v_mul_f32_e32 v11, v63, v55
	v_mul_f32_e32 v2, v62, v55
	s_waitcnt vmcnt(2)
	v_mul_f32_e32 v14, v65, v69
	v_mul_f32_e32 v15, v64, v69
	;; [unrolled: 3-line block ×3, first 2 shown]
	v_fmac_f32_e32 v7, v60, v52
	v_fma_f32 v8, v61, v52, -v8
	v_fmac_f32_e32 v11, v62, v54
	v_fma_f32 v12, v63, v54, -v2
	;; [unrolled: 2-line block ×4, first 2 shown]
	ds_write2_b64 v73, v[0:1], v[3:4] offset0:124 offset1:152
	ds_write2_b64 v74, v[5:6], v[7:8] offset0:52 offset1:80
	;; [unrolled: 1-line block ×4, first 2 shown]
.LBB0_3:
	s_or_b32 exec_lo, exec_lo, s1
	s_clause 0x1
	s_load_dwordx2 s[0:1], s[4:5], 0x20
	s_load_dwordx2 s[2:3], s[4:5], 0x8
	v_mov_b32_e32 v4, 0
	v_mov_b32_e32 v5, 0
	s_waitcnt lgkmcnt(0)
	s_barrier
	buffer_gl0_inv
                                        ; implicit-def: $vgpr14
                                        ; implicit-def: $vgpr8
                                        ; implicit-def: $vgpr36
                                        ; implicit-def: $vgpr18
                                        ; implicit-def: $vgpr22
                                        ; implicit-def: $vgpr26
                                        ; implicit-def: $vgpr30
                                        ; implicit-def: $vgpr34
	s_and_saveexec_b32 s4, vcc_lo
	s_cbranch_execz .LBB0_5
; %bb.4:
	v_lshl_add_u32 v0, v96, 3, v94
	v_add_nc_u32_e32 v1, 0x800, v0
	ds_read2_b64 v[4:7], v0 offset1:28
	ds_read2_b64 v[32:35], v0 offset0:56 offset1:84
	ds_read2_b64 v[28:31], v0 offset0:112 offset1:140
	;; [unrolled: 1-line block ×7, first 2 shown]
	ds_read_b64 v[36:37], v0 offset:3584
.LBB0_5:
	s_or_b32 exec_lo, exec_lo, s4
	s_waitcnt lgkmcnt(0)
	v_sub_f32_e32 v85, v7, v37
	v_add_f32_e32 v53, v36, v6
	v_sub_f32_e32 v89, v6, v36
	v_sub_f32_e32 v86, v33, v11
	v_add_f32_e32 v55, v37, v7
	v_mul_f32_e32 v68, 0xbeb8f4ab, v85
	v_add_f32_e32 v54, v10, v32
	v_sub_f32_e32 v91, v32, v10
	v_mul_f32_e32 v73, 0xbeb8f4ab, v89
	v_mul_f32_e32 v63, 0xbf2c7751, v86
	v_fmamk_f32 v0, v53, 0x3f6eb680, v68
	v_sub_f32_e32 v88, v35, v9
	v_add_f32_e32 v56, v11, v33
	v_mul_f32_e32 v65, 0xbf2c7751, v91
	v_fma_f32 v1, 0x3f6eb680, v55, -v73
	v_fmamk_f32 v2, v54, 0x3f3d2fb0, v63
	v_add_f32_e32 v0, v0, v4
	v_add_f32_e32 v57, v8, v34
	v_mul_f32_e32 v67, 0xbf65296c, v88
	v_sub_f32_e32 v109, v34, v8
	v_fma_f32 v3, 0x3f3d2fb0, v56, -v65
	v_add_f32_e32 v1, v1, v5
	v_add_f32_e32 v0, v2, v0
	;; [unrolled: 1-line block ×3, first 2 shown]
	v_sub_f32_e32 v92, v29, v15
	v_fmamk_f32 v2, v57, 0x3ee437d1, v67
	v_mul_f32_e32 v72, 0xbf65296c, v109
	v_sub_f32_e32 v118, v28, v14
	v_add_f32_e32 v1, v3, v1
	v_add_f32_e32 v59, v14, v28
	v_mul_f32_e32 v71, 0xbf7ee86f, v92
	v_add_f32_e32 v0, v2, v0
	v_fma_f32 v2, 0x3ee437d1, v58, -v72
	v_add_f32_e32 v60, v15, v29
	v_mul_f32_e32 v74, 0xbf7ee86f, v118
	v_sub_f32_e32 v103, v31, v13
	v_fmamk_f32 v3, v59, 0x3dbcf732, v71
	v_add_f32_e32 v1, v2, v1
	v_add_f32_e32 v61, v12, v30
	v_fma_f32 v2, 0x3dbcf732, v60, -v74
	v_mul_f32_e32 v75, 0xbf763a35, v103
	v_sub_f32_e32 v119, v30, v12
	v_add_f32_e32 v0, v3, v0
	v_add_f32_e32 v64, v13, v31
	;; [unrolled: 1-line block ×3, first 2 shown]
	v_fmamk_f32 v2, v61, 0xbe8c1d8e, v75
	v_mul_f32_e32 v78, 0xbf763a35, v119
	v_sub_f32_e32 v120, v24, v18
	v_add_f32_e32 v66, v19, v25
	v_sub_f32_e32 v122, v26, v16
	v_add_f32_e32 v0, v2, v0
	v_fma_f32 v2, 0xbe8c1d8e, v64, -v78
	v_mul_f32_e32 v79, 0xbf4c4adb, v120
	v_add_f32_e32 v70, v17, v27
	v_mul_f32_e32 v82, 0xbf06c442, v122
	v_mul_f32_e32 v99, 0xbf2c7751, v85
	v_add_f32_e32 v1, v2, v1
	v_fma_f32 v2, 0xbf1a4643, v66, -v79
	v_mul_f32_e32 v101, 0xbf7ee86f, v86
	v_mul_f32_e32 v102, 0xbf4c4adb, v88
	v_sub_f32_e32 v111, v25, v19
	v_mul_f32_e32 v104, 0xbe3c28d5, v92
	v_add_f32_e32 v1, v2, v1
	v_fma_f32 v2, 0xbf59a7d5, v70, -v82
	v_fmamk_f32 v38, v54, 0x3dbcf732, v101
	v_add_f32_e32 v62, v18, v24
	v_mul_f32_e32 v77, 0xbf4c4adb, v111
	v_sub_f32_e32 v100, v27, v17
	v_add_f32_e32 v1, v2, v1
	v_fmamk_f32 v2, v53, 0x3f3d2fb0, v99
	v_mul_f32_e32 v105, 0x3f06c442, v103
	v_fmamk_f32 v3, v62, 0xbf1a4643, v77
	v_add_f32_e32 v69, v16, v26
	v_mul_f32_e32 v81, 0xbf06c442, v100
	v_add_f32_e32 v2, v2, v4
	v_sub_f32_e32 v87, v21, v23
	v_mul_f32_e32 v106, 0x3f763a35, v111
	v_add_f32_e32 v0, v3, v0
	v_fmamk_f32 v3, v69, 0xbf59a7d5, v81
	v_add_f32_e32 v2, v38, v2
	v_fmamk_f32 v38, v57, 0xbf1a4643, v102
	v_add_f32_e32 v76, v22, v20
	v_mul_f32_e32 v83, 0xbe3c28d5, v87
	v_mul_f32_e32 v107, 0x3f65296c, v100
	v_add_f32_e32 v0, v3, v0
	v_add_f32_e32 v2, v38, v2
	v_fmamk_f32 v38, v59, 0xbf7ba420, v104
	v_mul_f32_e32 v116, 0xbf2c7751, v89
	v_fmamk_f32 v40, v76, 0xbf7ba420, v83
	v_mul_f32_e32 v124, 0xbf65296c, v85
	v_mul_f32_e32 v137, 0xbf65296c, v89
	v_add_f32_e32 v2, v38, v2
	v_fmamk_f32 v38, v61, 0xbf59a7d5, v105
	v_fma_f32 v3, 0x3f3d2fb0, v55, -v116
	v_mul_f32_e32 v117, 0xbf7ee86f, v91
	v_add_f32_e32 v45, v40, v0
	v_mul_f32_e32 v131, 0xbf4c4adb, v86
	v_add_f32_e32 v2, v38, v2
	v_fmamk_f32 v38, v62, 0xbe8c1d8e, v106
	v_fma_f32 v40, 0x3ee437d1, v55, -v137
	v_mul_f32_e32 v138, 0xbf4c4adb, v91
	v_add_f32_e32 v3, v3, v5
	v_fma_f32 v39, 0x3dbcf732, v56, -v117
	v_add_f32_e32 v2, v38, v2
	v_fmamk_f32 v38, v69, 0x3ee437d1, v107
	v_mul_f32_e32 v110, 0xbf4c4adb, v109
	v_fmamk_f32 v41, v54, 0xbf1a4643, v131
	v_mul_f32_e32 v130, 0x3e3c28d5, v88
	v_add_f32_e32 v40, v40, v5
	v_add_f32_e32 v2, v38, v2
	v_fmamk_f32 v38, v53, 0x3ee437d1, v124
	v_fma_f32 v42, 0xbf1a4643, v56, -v138
	v_mul_f32_e32 v136, 0x3e3c28d5, v109
	v_add_f32_e32 v3, v39, v3
	v_fma_f32 v39, 0xbf1a4643, v58, -v110
	v_add_f32_e32 v38, v38, v4
	v_mul_f32_e32 v112, 0xbe3c28d5, v118
	v_mul_f32_e32 v129, 0x3f763a35, v92
	v_add_f32_e32 v40, v42, v40
	v_fma_f32 v42, 0xbf7ba420, v58, -v136
	v_add_f32_e32 v38, v41, v38
	v_fmamk_f32 v41, v57, 0xbf7ba420, v130
	v_mul_f32_e32 v135, 0x3f763a35, v118
	v_add_f32_e32 v3, v39, v3
	v_fma_f32 v39, 0xbf7ba420, v60, -v112
	v_mul_f32_e32 v113, 0x3f06c442, v119
	v_add_f32_e32 v38, v41, v38
	v_fmamk_f32 v41, v59, 0xbe8c1d8e, v129
	v_mul_f32_e32 v128, 0x3f2c7751, v103
	v_add_f32_e32 v40, v42, v40
	v_fma_f32 v42, 0xbe8c1d8e, v60, -v135
	v_mul_f32_e32 v134, 0x3f2c7751, v119
	v_add_f32_e32 v3, v39, v3
	v_fma_f32 v39, 0xbf59a7d5, v64, -v113
	v_mul_f32_e32 v114, 0x3f763a35, v120
	v_add_f32_e32 v38, v41, v38
	v_fmamk_f32 v41, v61, 0x3f3d2fb0, v128
	v_mul_f32_e32 v127, 0xbeb8f4ab, v111
	v_add_f32_e32 v40, v42, v40
	v_fma_f32 v42, 0x3f3d2fb0, v64, -v134
	v_mul_f32_e32 v133, 0xbeb8f4ab, v120
	v_sub_f32_e32 v108, v20, v22
	v_add_f32_e32 v3, v39, v3
	v_fma_f32 v39, 0xbe8c1d8e, v66, -v114
	v_mul_f32_e32 v115, 0x3f65296c, v122
	v_add_f32_e32 v38, v41, v38
	v_fmamk_f32 v41, v62, 0x3f6eb680, v127
	v_mul_f32_e32 v125, 0xbf7ee86f, v100
	v_add_f32_e32 v40, v42, v40
	v_fma_f32 v42, 0x3f6eb680, v66, -v133
	v_mul_f32_e32 v132, 0xbf7ee86f, v122
	v_add_f32_e32 v80, v23, v21
	v_mul_f32_e32 v84, 0xbe3c28d5, v108
	v_add_f32_e32 v3, v39, v3
	v_fma_f32 v39, 0x3ee437d1, v70, -v115
	v_mul_f32_e32 v90, 0x3eb8f4ab, v87
	v_mul_f32_e32 v121, 0x3eb8f4ab, v108
	v_add_f32_e32 v38, v41, v38
	v_fmamk_f32 v41, v69, 0x3dbcf732, v125
	v_mul_f32_e32 v123, 0xbf06c442, v87
	v_add_f32_e32 v40, v42, v40
	v_fma_f32 v42, 0x3dbcf732, v70, -v132
	v_mul_f32_e32 v126, 0xbf06c442, v108
	v_fma_f32 v0, 0xbf7ba420, v80, -v84
	v_add_f32_e32 v3, v39, v3
	v_fmamk_f32 v39, v76, 0x3f6eb680, v90
	v_fma_f32 v43, 0x3f6eb680, v80, -v121
	v_add_f32_e32 v38, v41, v38
	v_fmamk_f32 v41, v76, 0xbf59a7d5, v123
	v_add_f32_e32 v40, v42, v40
	v_fma_f32 v42, 0xbf59a7d5, v80, -v126
	v_add_f32_e32 v46, v0, v1
	v_add_f32_e32 v2, v39, v2
	;; [unrolled: 1-line block ×5, first 2 shown]
	s_barrier
	buffer_gl0_inv
	s_and_saveexec_b32 s4, vcc_lo
	s_cbranch_execz .LBB0_7
; %bb.6:
	v_mul_f32_e32 v148, 0xbe8c1d8e, v55
	v_mul_f32_e32 v140, 0xbf59a7d5, v56
	;; [unrolled: 1-line block ×5, first 2 shown]
	v_fmamk_f32 v38, v89, 0x3f763a35, v148
	v_fmamk_f32 v40, v91, 0xbf06c442, v140
	;; [unrolled: 1-line block ×3, first 2 shown]
	v_mul_f32_e32 v142, 0x3ee437d1, v60
	v_mul_f32_e32 v150, 0x3f2c7751, v88
	v_add_f32_e32 v38, v38, v5
	v_fmamk_f32 v41, v54, 0xbf59a7d5, v149
	v_add_f32_e32 v39, v39, v4
	v_fmamk_f32 v42, v109, 0xbf2c7751, v143
	v_mul_f32_e32 v153, 0xbf65296c, v92
	v_add_f32_e32 v38, v40, v38
	v_fmamk_f32 v40, v57, 0x3f3d2fb0, v150
	v_add_f32_e32 v39, v41, v39
	v_mul_f32_e32 v154, 0xbf7ba420, v64
	v_fmamk_f32 v41, v118, 0x3f65296c, v142
	v_add_f32_e32 v38, v42, v38
	v_fmamk_f32 v42, v59, 0x3ee437d1, v153
	v_add_f32_e32 v39, v40, v39
	v_mul_f32_e32 v145, 0x3dbcf732, v66
	v_mul_f32_e32 v151, 0xbe3c28d5, v103
	v_add_f32_e32 v38, v41, v38
	v_fmamk_f32 v40, v119, 0x3e3c28d5, v154
	v_add_f32_e32 v39, v42, v39
	v_mul_f32_e32 v146, 0x3f7ee86f, v111
	v_fmamk_f32 v41, v61, 0xbf7ba420, v151
	v_fmamk_f32 v42, v120, 0xbf7ee86f, v145
	v_add_f32_e32 v38, v40, v38
	v_mul_f32_e32 v144, 0x3f6eb680, v70
	v_fmamk_f32 v40, v62, 0x3dbcf732, v146
	v_add_f32_e32 v39, v41, v39
	v_mul_f32_e32 v152, 0xbeb8f4ab, v100
	v_add_f32_e32 v38, v42, v38
	v_fmamk_f32 v41, v122, 0x3eb8f4ab, v144
	v_mul_f32_e32 v139, 0xbf1a4643, v80
	v_add_f32_e32 v39, v40, v39
	v_fmamk_f32 v40, v69, 0x3f6eb680, v152
	;; [unrolled: 3-line block ×3, first 2 shown]
	v_mul_f32_e32 v52, 0xbf4c4adb, v85
	v_add_f32_e32 v40, v40, v39
	v_mul_f32_e32 v155, 0xbe8c1d8e, v56
	v_mul_f32_e32 v156, 0x3f763a35, v86
	v_add_f32_e32 v39, v41, v38
	v_fmamk_f32 v38, v89, 0x3f4c4adb, v51
	v_fmamk_f32 v42, v53, 0xbf1a4643, v52
	;; [unrolled: 1-line block ×3, first 2 shown]
	v_mul_f32_e32 v157, 0x3f6eb680, v58
	v_fmamk_f32 v47, v54, 0xbe8c1d8e, v156
	v_add_f32_e32 v38, v38, v5
	v_add_f32_e32 v42, v42, v4
	v_mul_f32_e32 v158, 0xbeb8f4ab, v88
	v_mul_f32_e32 v159, 0xbf59a7d5, v60
	v_mul_f32_e32 v160, 0xbf06c442, v92
	v_add_f32_e32 v38, v43, v38
	v_fmamk_f32 v43, v109, 0x3eb8f4ab, v157
	v_add_f32_e32 v42, v47, v42
	v_fmamk_f32 v47, v57, 0x3f6eb680, v158
	v_mul_f32_e32 v161, 0x3dbcf732, v64
	v_mul_f32_e32 v162, 0x3f7ee86f, v103
	v_add_f32_e32 v38, v43, v38
	v_fmamk_f32 v43, v118, 0x3f06c442, v159
	v_add_f32_e32 v42, v47, v42
	v_fmamk_f32 v47, v59, 0xbf59a7d5, v160
	v_mul_f32_e32 v163, 0x3f3d2fb0, v66
	v_mul_f32_e32 v141, 0xbf4c4adb, v87
	;; [unrolled: 6-line block ×3, first 2 shown]
	v_add_f32_e32 v38, v43, v38
	v_fmamk_f32 v43, v120, 0x3f2c7751, v163
	v_fmamk_f32 v41, v76, 0xbf1a4643, v141
	v_add_f32_e32 v42, v47, v42
	v_fmamk_f32 v47, v62, 0x3f3d2fb0, v164
	v_mul_f32_e32 v166, 0xbe3c28d5, v100
	v_add_f32_e32 v43, v43, v38
	v_fmamk_f32 v48, v122, 0x3e3c28d5, v165
	v_mul_f32_e32 v167, 0x3ee437d1, v80
	v_add_f32_e32 v42, v47, v42
	v_fmamk_f32 v47, v69, 0xbf7ba420, v166
	v_add_f32_e32 v38, v41, v40
	v_add_f32_e32 v40, v48, v43
	v_fmamk_f32 v41, v108, 0xbf65296c, v167
	v_mul_f32_e32 v49, 0xbf59a7d5, v55
	v_mul_f32_e32 v50, 0xbf06c442, v85
	v_add_f32_e32 v42, v47, v42
	v_mul_f32_e32 v169, 0x3ee437d1, v56
	v_add_f32_e32 v41, v41, v40
	v_fmamk_f32 v40, v89, 0x3f06c442, v49
	v_fmamk_f32 v47, v53, 0xbf59a7d5, v50
	v_mul_f32_e32 v170, 0x3f65296c, v86
	v_fmac_f32_e32 v51, 0xbf4c4adb, v89
	v_fma_f32 v52, 0xbf1a4643, v53, -v52
	v_add_f32_e32 v40, v40, v5
	v_fmamk_f32 v48, v91, 0xbf65296c, v169
	v_mul_f32_e32 v171, 0x3dbcf732, v58
	v_add_f32_e32 v47, v47, v4
	v_fmamk_f32 v172, v54, 0x3ee437d1, v170
	v_mul_f32_e32 v173, 0xbf7ee86f, v88
	v_add_f32_e32 v51, v51, v5
	v_fmac_f32_e32 v155, 0x3f763a35, v91
	v_add_f32_e32 v52, v52, v4
	v_fma_f32 v156, 0xbe8c1d8e, v54, -v156
	v_add_f32_e32 v40, v48, v40
	v_fmamk_f32 v48, v109, 0x3f7ee86f, v171
	v_mul_f32_e32 v174, 0xbf1a4643, v60
	v_add_f32_e32 v47, v172, v47
	v_fmamk_f32 v172, v57, 0x3dbcf732, v173
	v_mul_f32_e32 v175, 0x3f4c4adb, v92
	v_add_f32_e32 v51, v155, v51
	v_fmac_f32_e32 v157, 0xbeb8f4ab, v109
	v_add_f32_e32 v52, v156, v52
	v_fma_f32 v155, 0x3f6eb680, v57, -v158
	v_fmac_f32_e32 v148, 0xbf763a35, v89
	v_add_f32_e32 v40, v48, v40
	v_fmamk_f32 v48, v118, 0xbf4c4adb, v174
	v_mul_f32_e32 v176, 0x3f6eb680, v64
	v_add_f32_e32 v47, v172, v47
	v_fmamk_f32 v172, v59, 0xbf1a4643, v175
	v_mul_f32_e32 v177, 0xbeb8f4ab, v103
	v_add_f32_e32 v51, v157, v51
	v_add_f32_e32 v155, v155, v52
	v_fma_f32 v157, 0xbf59a7d5, v59, -v160
	v_add_f32_e32 v148, v148, v5
	v_fmac_f32_e32 v140, 0x3f06c442, v91
	v_fma_f32 v147, 0xbe8c1d8e, v53, -v147
	v_mul_f32_e32 v168, 0x3f65296c, v87
	v_add_f32_e32 v40, v48, v40
	v_fmamk_f32 v48, v119, 0x3eb8f4ab, v176
	v_mul_f32_e32 v178, 0xbf7ba420, v66
	v_add_f32_e32 v47, v172, v47
	v_fmamk_f32 v172, v61, 0x3f6eb680, v177
	v_mul_f32_e32 v179, 0xbe3c28d5, v111
	v_add_f32_e32 v155, v157, v155
	v_fma_f32 v157, 0x3dbcf732, v61, -v162
	v_add_f32_e32 v140, v140, v148
	v_fmac_f32_e32 v143, 0x3f2c7751, v109
	v_add_f32_e32 v147, v147, v4
	v_fma_f32 v149, 0xbf59a7d5, v54, -v149
	v_fmamk_f32 v43, v76, 0x3ee437d1, v168
	v_add_f32_e32 v48, v48, v40
	v_fmamk_f32 v180, v120, 0x3e3c28d5, v178
	v_mul_f32_e32 v181, 0x3f3d2fb0, v70
	v_add_f32_e32 v47, v172, v47
	v_fmamk_f32 v172, v62, 0xbf7ba420, v179
	v_mul_f32_e32 v182, 0x3f2c7751, v100
	v_add_f32_e32 v155, v157, v155
	v_fma_f32 v157, 0x3f3d2fb0, v62, -v164
	v_add_f32_e32 v140, v143, v140
	v_fmac_f32_e32 v142, 0xbf65296c, v118
	v_add_f32_e32 v143, v149, v147
	v_fma_f32 v147, 0x3f3d2fb0, v57, -v150
	v_add_f32_e32 v40, v43, v42
	v_add_f32_e32 v42, v180, v48
	v_fmamk_f32 v43, v122, 0xbf2c7751, v181
	v_add_f32_e32 v47, v172, v47
	v_fmamk_f32 v48, v69, 0x3f3d2fb0, v182
	v_mul_f32_e32 v172, 0xbf7ba420, v55
	v_add_f32_e32 v155, v157, v155
	v_fma_f32 v148, 0xbf7ba420, v69, -v166
	v_add_f32_e32 v140, v142, v140
	v_fmac_f32_e32 v154, 0xbe3c28d5, v119
	v_add_f32_e32 v147, v147, v143
	v_fma_f32 v149, 0x3ee437d1, v59, -v153
	v_add_f32_e32 v42, v43, v42
	v_add_f32_e32 v47, v48, v47
	v_fmamk_f32 v43, v89, 0x3e3c28d5, v172
	v_mul_f32_e32 v48, 0x3f6eb680, v56
	v_fmac_f32_e32 v172, 0xbe3c28d5, v89
	v_fmac_f32_e32 v49, 0xbf06c442, v89
	v_add_f32_e32 v148, v148, v155
	v_fma_f32 v142, 0x3ee437d1, v76, -v168
	v_add_f32_e32 v140, v154, v140
	v_fmac_f32_e32 v145, 0x3f7ee86f, v120
	v_mul_f32_e32 v89, 0xbf7ee86f, v89
	v_add_f32_e32 v147, v149, v147
	v_fma_f32 v149, 0xbf7ba420, v61, -v151
	v_add_f32_e32 v187, v43, v5
	v_fmamk_f32 v188, v91, 0xbeb8f4ab, v48
	v_mul_f32_e32 v189, 0xbf59a7d5, v58
	v_fmac_f32_e32 v48, 0x3eb8f4ab, v91
	v_fmac_f32_e32 v169, 0x3f65296c, v91
	v_add_f32_e32 v142, v142, v148
	v_add_f32_e32 v140, v145, v140
	v_fmamk_f32 v145, v55, 0x3dbcf732, v89
	v_mul_f32_e32 v148, 0xbe3c28d5, v91
	v_add_f32_e32 v91, v149, v147
	v_fma_f32 v146, 0x3dbcf732, v62, -v146
	v_add_f32_e32 v187, v188, v187
	v_fmamk_f32 v188, v109, 0x3f06c442, v189
	v_mul_f32_e32 v190, 0x3f3d2fb0, v60
	v_fmac_f32_e32 v189, 0xbf06c442, v109
	v_fmac_f32_e32 v171, 0xbf7ee86f, v109
	;; [unrolled: 1-line block ×3, first 2 shown]
	v_add_f32_e32 v145, v145, v5
	v_fmamk_f32 v147, v56, 0xbf7ba420, v148
	v_mul_f32_e32 v109, 0x3f763a35, v109
	v_add_f32_e32 v91, v146, v91
	v_fma_f32 v146, 0x3f6eb680, v69, -v152
	v_add_f32_e32 v187, v188, v187
	v_fmamk_f32 v188, v118, 0xbf2c7751, v190
	v_mul_f32_e32 v193, 0xbf1a4643, v64
	v_fmac_f32_e32 v190, 0x3f2c7751, v118
	v_fmac_f32_e32 v174, 0x3f4c4adb, v118
	;; [unrolled: 1-line block ×3, first 2 shown]
	v_add_f32_e32 v140, v144, v140
	v_add_f32_e32 v144, v147, v145
	v_fmamk_f32 v145, v58, 0xbe8c1d8e, v109
	v_mul_f32_e32 v118, 0x3eb8f4ab, v118
	v_add_f32_e32 v91, v146, v91
	v_mul_f32_e32 v146, 0xbf7ee86f, v85
	v_mul_f32_e32 v180, 0xbe8c1d8e, v80
	;; [unrolled: 1-line block ×3, first 2 shown]
	v_add_f32_e32 v187, v188, v187
	v_fmamk_f32 v188, v119, 0x3f4c4adb, v193
	v_mul_f32_e32 v195, 0x3ee437d1, v66
	v_fmac_f32_e32 v193, 0xbf4c4adb, v119
	v_fmac_f32_e32 v176, 0xbeb8f4ab, v119
	;; [unrolled: 1-line block ×3, first 2 shown]
	v_add_f32_e32 v85, v145, v144
	v_fmamk_f32 v144, v60, 0x3f6eb680, v118
	v_mul_f32_e32 v119, 0xbf65296c, v119
	v_fma_f32 v145, 0x3dbcf732, v53, -v146
	v_mul_f32_e32 v147, 0xbe3c28d5, v86
	v_fmamk_f32 v184, v108, 0x3f763a35, v180
	v_add_f32_e32 v187, v188, v187
	v_fmamk_f32 v188, v120, 0xbf65296c, v195
	v_fmac_f32_e32 v195, 0x3f65296c, v120
	v_fmac_f32_e32 v178, 0xbe3c28d5, v120
	;; [unrolled: 1-line block ×4, first 2 shown]
	v_add_f32_e32 v85, v144, v85
	v_fmamk_f32 v144, v64, 0x3ee437d1, v119
	v_add_f32_e32 v145, v145, v4
	v_fma_f32 v149, 0xbf7ba420, v54, -v147
	v_mul_f32_e32 v150, 0x3f763a35, v88
	v_mul_f32_e32 v120, 0xbf06c442, v120
	v_add_f32_e32 v43, v184, v42
	v_mul_f32_e32 v184, 0x3eb8f4ab, v86
	v_mul_f32_e32 v192, 0xbf06c442, v88
	;; [unrolled: 1-line block ×3, first 2 shown]
	v_fma_f32 v141, 0xbf1a4643, v76, -v141
	v_add_f32_e32 v86, v139, v140
	v_add_f32_e32 v88, v144, v85
	;; [unrolled: 1-line block ×3, first 2 shown]
	v_fma_f32 v140, 0xbe8c1d8e, v57, -v150
	v_mul_f32_e32 v144, 0x3eb8f4ab, v92
	v_fmamk_f32 v92, v66, 0xbf59a7d5, v120
	v_mul_f32_e32 v197, 0xbf4c4adb, v103
	v_add_f32_e32 v85, v141, v91
	v_add_f32_e32 v91, v140, v139
	v_fma_f32 v139, 0x3f6eb680, v59, -v144
	v_add_f32_e32 v88, v92, v88
	v_mul_f32_e32 v92, 0x3ee437d1, v55
	v_mul_f32_e32 v103, 0xbf65296c, v103
	v_fmamk_f32 v42, v53, 0xbf7ba420, v186
	v_add_f32_e32 v91, v139, v91
	v_mul_f32_e32 v139, 0xbf1a4643, v56
	v_add_f32_e32 v92, v137, v92
	v_fma_f32 v137, 0x3ee437d1, v61, -v103
	v_add_f32_e32 v42, v42, v4
	v_fmamk_f32 v191, v54, 0x3f6eb680, v184
	v_add_f32_e32 v138, v138, v139
	v_add_f32_e32 v92, v92, v5
	;; [unrolled: 1-line block ×3, first 2 shown]
	v_mul_f32_e32 v137, 0x3ee437d1, v53
	v_mul_f32_e32 v139, 0xbf7ba420, v58
	;; [unrolled: 1-line block ×3, first 2 shown]
	v_add_f32_e32 v92, v138, v92
	v_mul_f32_e32 v138, 0xbf1a4643, v54
	v_sub_f32_e32 v124, v137, v124
	v_add_f32_e32 v136, v136, v139
	v_mul_f32_e32 v137, 0xbe8c1d8e, v60
	v_add_f32_e32 v42, v191, v42
	v_fmamk_f32 v191, v57, 0xbf59a7d5, v192
	v_add_f32_e32 v187, v188, v187
	v_mul_f32_e32 v188, 0xbe8c1d8e, v70
	v_sub_f32_e32 v131, v138, v131
	v_add_f32_e32 v124, v124, v4
	v_add_f32_e32 v92, v136, v92
	v_mul_f32_e32 v136, 0xbf7ba420, v57
	v_add_f32_e32 v135, v135, v137
	v_fmamk_f32 v185, v76, 0xbe8c1d8e, v183
	v_add_f32_e32 v191, v191, v42
	v_fmamk_f32 v196, v59, 0x3f3d2fb0, v194
	v_fmamk_f32 v198, v122, 0x3f763a35, v188
	v_fmac_f32_e32 v188, 0xbf763a35, v122
	v_fmac_f32_e32 v181, 0x3f2c7751, v122
	;; [unrolled: 1-line block ×3, first 2 shown]
	v_mul_f32_e32 v122, 0x3f4c4adb, v122
	v_add_f32_e32 v124, v131, v124
	v_mul_f32_e32 v131, 0x3f3d2fb0, v64
	v_sub_f32_e32 v130, v136, v130
	v_add_f32_e32 v92, v135, v92
	v_mul_f32_e32 v135, 0xbe8c1d8e, v59
	v_add_f32_e32 v42, v185, v47
	v_add_f32_e32 v47, v196, v191
	v_mul_f32_e32 v191, 0x3f65296c, v111
	v_fmamk_f32 v140, v70, 0xbf1a4643, v122
	v_mul_f32_e32 v111, 0xbf06c442, v111
	v_add_f32_e32 v131, v134, v131
	v_add_f32_e32 v124, v130, v124
	v_mul_f32_e32 v130, 0x3f6eb680, v66
	v_sub_f32_e32 v129, v135, v129
	v_mul_f32_e32 v196, 0xbf763a35, v100
	v_add_f32_e32 v88, v140, v88
	v_fma_f32 v140, 0xbf59a7d5, v62, -v111
	v_add_f32_e32 v92, v131, v92
	v_mul_f32_e32 v131, 0x3f3d2fb0, v61
	v_add_f32_e32 v130, v133, v130
	v_add_f32_e32 v124, v129, v124
	v_mul_f32_e32 v129, 0x3dbcf732, v70
	v_mul_f32_e32 v100, 0x3f4c4adb, v100
	v_add_f32_e32 v91, v140, v91
	v_mul_f32_e32 v134, 0x3f3d2fb0, v53
	v_mul_f32_e32 v135, 0x3f3d2fb0, v55
	v_sub_f32_e32 v128, v131, v128
	v_add_f32_e32 v92, v130, v92
	v_mul_f32_e32 v130, 0x3f6eb680, v62
	v_add_f32_e32 v129, v132, v129
	v_fma_f32 v132, 0xbf1a4643, v69, -v100
	v_add_f32_e32 v124, v128, v124
	v_mul_f32_e32 v128, 0x3dbcf732, v54
	v_sub_f32_e32 v127, v130, v127
	v_mul_f32_e32 v130, 0x3dbcf732, v56
	v_add_f32_e32 v132, v132, v91
	v_add_f32_e32 v91, v129, v92
	v_mul_f32_e32 v92, 0x3dbcf732, v69
	v_add_f32_e32 v116, v116, v135
	v_sub_f32_e32 v99, v134, v99
	v_add_f32_e32 v124, v127, v124
	v_add_f32_e32 v117, v117, v130
	v_sub_f32_e32 v92, v92, v125
	v_mul_f32_e32 v125, 0xbf1a4643, v57
	v_mul_f32_e32 v130, 0xbf1a4643, v58
	v_add_f32_e32 v116, v116, v5
	v_sub_f32_e32 v101, v128, v101
	v_add_f32_e32 v99, v99, v4
	v_add_f32_e32 v124, v92, v124
	;; [unrolled: 1-line block ×4, first 2 shown]
	v_mul_f32_e32 v116, 0xbf7ba420, v59
	v_mul_f32_e32 v117, 0xbf7ba420, v60
	v_add_f32_e32 v99, v101, v99
	v_sub_f32_e32 v102, v125, v102
	v_add_f32_e32 v92, v110, v92
	v_mul_f32_e32 v110, 0xbf59a7d5, v61
	v_add_f32_e32 v112, v112, v117
	v_mul_f32_e32 v117, 0xbf59a7d5, v64
	v_add_f32_e32 v99, v102, v99
	v_sub_f32_e32 v104, v116, v104
	v_add_f32_e32 v172, v172, v5
	v_add_f32_e32 v92, v112, v92
	v_mul_f32_e32 v112, 0xbe8c1d8e, v62
	v_add_f32_e32 v113, v113, v117
	v_add_f32_e32 v99, v104, v99
	v_sub_f32_e32 v105, v110, v105
	v_add_f32_e32 v48, v48, v172
	v_fma_f32 v172, 0xbf7ba420, v53, -v186
	v_mul_f32_e32 v186, 0x3f7ee86f, v87
	v_mul_f32_e32 v136, 0x3f6eb680, v55
	v_add_f32_e32 v92, v113, v92
	v_mul_f32_e32 v113, 0x3ee437d1, v69
	v_add_f32_e32 v99, v105, v99
	v_mul_f32_e32 v134, 0x3f2c7751, v87
	v_sub_f32_e32 v87, v112, v106
	v_add_f32_e32 v7, v7, v5
	v_add_f32_e32 v6, v6, v4
	v_mul_f32_e32 v131, 0x3f3d2fb0, v56
	v_mul_f32_e32 v127, 0x3ee437d1, v58
	v_add_f32_e32 v87, v87, v99
	v_sub_f32_e32 v99, v113, v107
	v_add_f32_e32 v107, v73, v136
	v_add_f32_e32 v7, v33, v7
	;; [unrolled: 1-line block ×8, first 2 shown]
	v_fmamk_f32 v185, v61, 0xbf1a4643, v197
	v_add_f32_e32 v172, v172, v4
	v_fma_f32 v184, 0x3f6eb680, v54, -v184
	v_mul_f32_e32 v135, 0x3dbcf732, v60
	v_add_f32_e32 v33, v65, v99
	v_add_f32_e32 v65, v72, v127
	;; [unrolled: 1-line block ×5, first 2 shown]
	v_fmamk_f32 v185, v62, 0x3ee437d1, v191
	v_add_f32_e32 v172, v184, v172
	v_fma_f32 v184, 0xbf59a7d5, v57, -v192
	v_mul_f32_e32 v128, 0xbe8c1d8e, v64
	v_add_f32_e32 v32, v65, v33
	v_add_f32_e32 v33, v74, v135
	;; [unrolled: 1-line block ×5, first 2 shown]
	v_fmamk_f32 v185, v69, 0xbe8c1d8e, v196
	v_add_f32_e32 v187, v198, v187
	v_mul_f32_e32 v198, 0x3dbcf732, v80
	v_add_f32_e32 v172, v184, v172
	v_fma_f32 v184, 0x3f3d2fb0, v59, -v194
	v_mul_f32_e32 v125, 0xbf1a4643, v66
	v_add_f32_e32 v32, v33, v32
	v_add_f32_e32 v31, v78, v128
	;; [unrolled: 1-line block ×5, first 2 shown]
	v_fmamk_f32 v185, v108, 0xbf7ee86f, v198
	v_add_f32_e32 v189, v189, v48
	v_add_f32_e32 v49, v49, v5
	;; [unrolled: 1-line block ×3, first 2 shown]
	v_fma_f32 v184, 0xbf1a4643, v61, -v197
	v_fma_f32 v50, 0xbf59a7d5, v53, -v50
	v_mul_f32_e32 v116, 0xbf59a7d5, v70
	v_add_f32_e32 v25, v31, v32
	v_add_f32_e32 v30, v79, v125
	;; [unrolled: 1-line block ×5, first 2 shown]
	v_fmamk_f32 v185, v76, 0x3dbcf732, v186
	v_add_f32_e32 v187, v190, v189
	v_add_f32_e32 v49, v169, v49
	v_add_f32_e32 v172, v184, v172
	v_fma_f32 v184, 0x3ee437d1, v62, -v191
	v_add_f32_e32 v50, v50, v4
	v_fma_f32 v170, 0x3ee437d1, v54, -v170
	v_mul_f32_e32 v137, 0x3f6eb680, v53
	v_mul_f32_e32 v110, 0xbf7ba420, v80
	v_add_f32_e32 v24, v30, v25
	v_add_f32_e32 v25, v82, v116
	;; [unrolled: 1-line block ×8, first 2 shown]
	v_fma_f32 v172, 0xbe8c1d8e, v69, -v196
	v_add_f32_e32 v50, v170, v50
	v_fma_f32 v170, 0x3dbcf732, v57, -v173
	v_mul_f32_e32 v133, 0x3f3d2fb0, v54
	v_sub_f32_e32 v68, v137, v68
	v_add_f32_e32 v24, v25, v24
	v_add_f32_e32 v7, v23, v7
	;; [unrolled: 1-line block ×8, first 2 shown]
	v_fma_f32 v172, 0xbf1a4643, v59, -v175
	v_mul_f32_e32 v138, 0x3ee437d1, v57
	v_mul_f32_e32 v129, 0xbf59a7d5, v80
	v_add_f32_e32 v68, v68, v4
	v_sub_f32_e32 v63, v133, v63
	v_add_f32_e32 v17, v17, v7
	v_add_f32_e32 v7, v23, v24
	v_fma_f32 v23, 0x3dbcf732, v55, -v89
	v_fmac_f32_e32 v146, 0x3dbcf732, v53
	v_add_f32_e32 v16, v16, v22
	v_add_f32_e32 v169, v188, v185
	v_fmac_f32_e32 v198, 0x3f7ee86f, v108
	v_add_f32_e32 v49, v176, v49
	v_fma_f32 v173, 0x3dbcf732, v76, -v186
	v_add_f32_e32 v170, v172, v170
	v_fma_f32 v172, 0x3f6eb680, v61, -v177
	v_add_f32_e32 v126, v126, v129
	v_mul_f32_e32 v129, 0x3dbcf732, v59
	v_add_f32_e32 v63, v63, v68
	v_sub_f32_e32 v35, v138, v67
	v_add_f32_e32 v17, v19, v17
	v_add_f32_e32 v5, v23, v5
	v_fma_f32 v19, 0xbf7ba420, v56, -v148
	v_add_f32_e32 v4, v146, v4
	v_fmac_f32_e32 v147, 0xbf7ba420, v54
	v_add_f32_e32 v16, v18, v16
	v_add_f32_e32 v50, v198, v169
	;; [unrolled: 1-line block ×5, first 2 shown]
	v_fma_f32 v171, 0xbf7ba420, v62, -v179
	v_mul_f32_e32 v130, 0xbe8c1d8e, v61
	v_add_f32_e32 v29, v35, v63
	v_sub_f32_e32 v34, v129, v71
	v_add_f32_e32 v13, v13, v17
	v_add_f32_e32 v5, v19, v5
	v_fma_f32 v17, 0xbe8c1d8e, v58, -v109
	v_add_f32_e32 v4, v147, v4
	v_fmac_f32_e32 v150, 0xbe8c1d8e, v57
	v_add_f32_e32 v12, v12, v16
	v_add_f32_e32 v170, v171, v170
	v_fma_f32 v171, 0x3f3d2fb0, v69, -v182
	v_mul_f32_e32 v101, 0xbf1a4643, v62
	v_add_f32_e32 v28, v34, v29
	v_sub_f32_e32 v29, v130, v75
	v_add_f32_e32 v13, v15, v13
	v_add_f32_e32 v5, v17, v5
	v_fma_f32 v15, 0x3f6eb680, v60, -v118
	v_add_f32_e32 v4, v150, v4
	v_fmac_f32_e32 v144, 0x3f6eb680, v59
	v_add_f32_e32 v12, v14, v12
	v_mul_f32_e32 v117, 0xbe8c1d8e, v66
	v_add_f32_e32 v156, v171, v170
	v_fma_f32 v158, 0xbe8c1d8e, v76, -v183
	v_add_f32_e32 v159, v159, v51
	v_mul_f32_e32 v102, 0xbf59a7d5, v69
	v_add_f32_e32 v28, v29, v28
	v_sub_f32_e32 v27, v101, v77
	v_add_f32_e32 v9, v9, v13
	v_add_f32_e32 v5, v15, v5
	v_fma_f32 v13, 0x3ee437d1, v64, -v119
	v_add_f32_e32 v4, v144, v4
	v_fmac_f32_e32 v103, 0x3ee437d1, v61
	v_add_f32_e32 v8, v8, v12
	v_add_f32_e32 v114, v114, v117
	v_mul_f32_e32 v117, 0x3ee437d1, v70
	v_add_f32_e32 v51, v158, v156
	v_add_f32_e32 v156, v161, v159
	v_mul_f32_e32 v104, 0xbf7ba420, v76
	v_add_f32_e32 v21, v27, v28
	v_sub_f32_e32 v26, v102, v81
	v_add_f32_e32 v9, v11, v9
	v_add_f32_e32 v11, v13, v5
	v_fma_f32 v12, 0xbf59a7d5, v66, -v120
	v_add_f32_e32 v4, v103, v4
	v_fmac_f32_e32 v111, 0xbf59a7d5, v62
	v_add_f32_e32 v8, v10, v8
	v_mul_lo_u16 v10, v97, 17
	v_add_f32_e32 v92, v114, v92
	v_mul_f32_e32 v114, 0x3f6eb680, v76
	v_add_f32_e32 v115, v115, v117
	v_mul_f32_e32 v105, 0xbf59a7d5, v76
	v_mul_f32_e32 v106, 0x3f6eb680, v80
	v_fmac_f32_e32 v180, 0xbf763a35, v108
	v_fmac_f32_e32 v167, 0x3f65296c, v108
	v_mul_f32_e32 v108, 0x3f2c7751, v108
	v_add_f32_e32 v156, v163, v156
	v_add_f32_e32 v20, v26, v21
	v_sub_f32_e32 v21, v104, v83
	v_add_f32_e32 v5, v37, v9
	v_add_f32_e32 v9, v12, v11
	v_fma_f32 v11, 0xbf1a4643, v70, -v122
	v_add_f32_e32 v12, v111, v4
	v_fmac_f32_e32 v100, 0xbf1a4643, v69
	v_add_f32_e32 v4, v36, v8
	v_and_b32_e32 v8, 0xffff, v10
	v_sub_f32_e32 v105, v105, v123
	v_add_f32_e32 v115, v115, v92
	v_add_f32_e32 v106, v121, v106
	v_sub_f32_e32 v90, v114, v90
	v_fmamk_f32 v117, v80, 0x3f3d2fb0, v108
	v_fma_f32 v112, 0x3f3d2fb0, v76, -v134
	v_add_f32_e32 v169, v181, v169
	v_add_f32_e32 v156, v165, v156
	;; [unrolled: 1-line block ×4, first 2 shown]
	v_fma_f32 v10, 0x3f3d2fb0, v80, -v108
	v_add_f32_e32 v11, v100, v12
	v_fmac_f32_e32 v134, 0x3f3d2fb0, v76
	v_add_lshl_u32 v12, v96, v8, 3
	v_add_f32_e32 v92, v126, v91
	v_add_f32_e32 v91, v105, v124
	;; [unrolled: 1-line block ×10, first 2 shown]
	ds_write2_b64 v12, v[4:5], v[6:7] offset1:1
	ds_write2_b64 v12, v[72:73], v[91:92] offset0:2 offset1:3
	ds_write2_b64 v12, v[87:88], v[85:86] offset0:4 offset1:5
	;; [unrolled: 1-line block ×7, first 2 shown]
	ds_write_b64 v12, v[45:46] offset:128
.LBB0_7:
	s_or_b32 exec_lo, exec_lo, s4
	v_add_nc_u16 v6, v97, 34
	s_load_dwordx4 s[4:7], s[0:1], 0x0
	v_add_co_u32 v5, s0, 0xffffffef, v97
	v_add_co_ci_u32_e64 v7, null, 0, -1, s0
	v_and_b32_e32 v4, 0xff, v6
	v_cmp_gt_u16_e64 s0, 17, v97
	v_add_nc_u16 v9, v97, 0x44
	v_add_nc_u16 v10, v97, 0x88
	;; [unrolled: 1-line block ×3, first 2 shown]
	v_mul_lo_u16 v4, 0xf1, v4
	v_cndmask_b32_e64 v18, v7, 0, s0
	v_add_nc_u16 v7, v97, 0x66
	v_and_b32_e32 v11, 0xff, v9
	v_and_b32_e32 v15, 0xff, v10
	v_lshrrev_b16 v33, 12, v4
	v_and_b32_e32 v16, 0xff, v13
	v_and_b32_e32 v14, 0xff, v7
	v_mul_lo_u16 v11, 0xf1, v11
	v_cndmask_b32_e64 v17, v5, v97, s0
	v_mul_lo_u16 v12, v33, 17
	v_mov_b32_e32 v8, 3
	v_mul_lo_u16 v14, 0xf1, v14
	v_lshrrev_b16 v35, 12, v11
	v_lshlrev_b64 v[4:5], 3, v[17:18]
	v_sub_nc_u16 v34, v6, v12
	v_add_nc_u16 v12, v97, 0xcc
	v_lshrrev_b16 v36, 12, v14
	v_mul_lo_u16 v14, 0xf1, v15
	v_mul_lo_u16 v15, 0xf1, v16
	;; [unrolled: 1-line block ×3, first 2 shown]
	v_and_b32_e32 v11, 0xff, v12
	v_add_co_u32 v4, s0, s2, v4
	v_add_co_ci_u32_e64 v5, s0, s3, v5, s0
	v_sub_nc_u16 v42, v9, v16
	v_mul_lo_u16 v11, 0xf1, v11
	v_lshlrev_b32_sdwa v6, v8, v34 dst_sel:DWORD dst_unused:UNUSED_PAD src0_sel:DWORD src1_sel:BYTE_0
	v_lshrrev_b16 v39, 12, v14
	v_mul_lo_u16 v18, v36, 17
	v_lshlrev_b32_sdwa v9, v8, v42 dst_sel:DWORD dst_unused:UNUSED_PAD src0_sel:DWORD src1_sel:BYTE_0
	v_lshrrev_b16 v40, 12, v15
	v_lshrrev_b16 v41, 12, v11
	s_waitcnt lgkmcnt(0)
	s_barrier
	buffer_gl0_inv
	s_clause 0x1
	global_load_dwordx2 v[59:60], v[4:5], off
	global_load_dwordx2 v[55:56], v9, s[2:3]
	v_mul_lo_u16 v4, v39, 17
	global_load_dwordx2 v[53:54], v6, s[2:3]
	v_sub_nc_u16 v43, v7, v18
	v_mul_lo_u16 v5, v40, 17
	v_mul_lo_u16 v7, v41, 17
	v_sub_nc_u16 v61, v10, v4
	v_add_lshl_u32 v99, v96, v97, 3
	v_lshlrev_b32_sdwa v4, v8, v43 dst_sel:DWORD dst_unused:UNUSED_PAD src0_sel:DWORD src1_sel:BYTE_0
	v_sub_nc_u16 v62, v13, v5
	v_sub_nc_u16 v63, v12, v7
	v_lshlrev_b32_sdwa v5, v8, v61 dst_sel:DWORD dst_unused:UNUSED_PAD src0_sel:DWORD src1_sel:BYTE_0
	v_cmp_lt_u16_e64 s0, 16, v97
	global_load_dwordx2 v[57:58], v4, s[2:3]
	v_lshlrev_b32_sdwa v6, v8, v62 dst_sel:DWORD dst_unused:UNUSED_PAD src0_sel:DWORD src1_sel:BYTE_0
	v_lshlrev_b32_sdwa v4, v8, v63 dst_sel:DWORD dst_unused:UNUSED_PAD src0_sel:DWORD src1_sel:BYTE_0
	s_clause 0x2
	global_load_dwordx2 v[51:52], v5, s[2:3]
	global_load_dwordx2 v[49:50], v6, s[2:3]
	;; [unrolled: 1-line block ×3, first 2 shown]
	ds_read2_b64 v[4:7], v99 offset1:34
	ds_read2_b64 v[8:11], v99 offset0:204 offset1:238
	ds_read2_b64 v[12:15], v99 offset0:68 offset1:102
	v_cndmask_b32_e64 v18, 0, 34, s0
	v_add_nc_u32_e32 v16, 0x800, v99
	v_mov_b32_e32 v64, 34
	v_mad_u16 v33, v33, 34, v34
	v_mad_u64_u32 v[37:38], null, v97, 48, s[2:3]
	v_add_nc_u32_e32 v65, v17, v18
	ds_read2_b64 v[17:20], v99 offset0:136 offset1:170
	ds_read2_b64 v[21:24], v16 offset0:16 offset1:50
	;; [unrolled: 1-line block ×4, first 2 shown]
	v_mul_u32_u24_sdwa v35, v35, v64 dst_sel:DWORD dst_unused:UNUSED_PAD src0_sel:WORD_0 src1_sel:DWORD
	v_mul_u32_u24_sdwa v36, v36, v64 dst_sel:DWORD dst_unused:UNUSED_PAD src0_sel:WORD_0 src1_sel:DWORD
	;; [unrolled: 1-line block ×5, first 2 shown]
	v_add_nc_u32_sdwa v34, v35, v42 dst_sel:DWORD dst_unused:UNUSED_PAD src0_sel:DWORD src1_sel:BYTE_0
	v_add_nc_u32_sdwa v35, v36, v43 dst_sel:DWORD dst_unused:UNUSED_PAD src0_sel:DWORD src1_sel:BYTE_0
	;; [unrolled: 1-line block ×5, first 2 shown]
	v_and_b32_e32 v33, 0xff, v33
	v_add_lshl_u32 v105, v96, v34, 3
	v_add_lshl_u32 v104, v96, v35, 3
	v_add_lshl_u32 v103, v96, v36, 3
	v_add_lshl_u32 v101, v96, v39, 3
	v_add_lshl_u32 v106, v96, v33, 3
	v_add_lshl_u32 v100, v96, v40, 3
	v_add_lshl_u32 v102, v96, v65, 3
	s_waitcnt vmcnt(0) lgkmcnt(0)
	s_barrier
	buffer_gl0_inv
	v_lshl_add_u32 v108, v97, 3, v98
	v_lshlrev_b32_e32 v107, 3, v97
	v_mul_f32_e32 v41, v11, v60
	v_mul_f32_e32 v42, v10, v60
	;; [unrolled: 1-line block ×5, first 2 shown]
	v_fma_f32 v10, v10, v59, -v41
	v_fmac_f32_e32 v42, v11, v59
	v_mul_f32_e32 v36, v23, v56
	v_fma_f32 v21, v21, v53, -v33
	v_fmac_f32_e32 v34, v22, v53
	v_sub_f32_e32 v10, v4, v10
	v_sub_f32_e32 v11, v5, v42
	v_fma_f32 v22, v23, v55, -v35
	v_fmac_f32_e32 v36, v24, v55
	v_mul_f32_e32 v39, v26, v58
	v_mul_f32_e32 v40, v25, v58
	v_fma_f32 v4, v4, 2.0, -v10
	v_mul_f32_e32 v41, v28, v52
	v_mul_f32_e32 v42, v27, v52
	;; [unrolled: 1-line block ×6, first 2 shown]
	v_fma_f32 v5, v5, 2.0, -v11
	v_fma_f32 v23, v25, v57, -v39
	v_fmac_f32_e32 v40, v26, v57
	v_fma_f32 v24, v27, v51, -v41
	v_fmac_f32_e32 v42, v28, v51
	v_fma_f32 v25, v29, v49, -v43
	v_fmac_f32_e32 v61, v30, v49
	v_fma_f32 v27, v31, v47, -v62
	v_fmac_f32_e32 v63, v32, v47
	ds_write2_b64 v102, v[4:5], v[10:11] offset1:17
	v_sub_f32_e32 v4, v6, v21
	v_sub_f32_e32 v5, v7, v34
	v_sub_f32_e32 v10, v12, v22
	v_sub_f32_e32 v11, v13, v36
	v_sub_f32_e32 v21, v14, v23
	v_sub_f32_e32 v22, v15, v40
	v_sub_f32_e32 v23, v17, v24
	v_sub_f32_e32 v24, v18, v42
	v_sub_f32_e32 v25, v19, v25
	v_sub_f32_e32 v26, v20, v61
	v_sub_f32_e32 v27, v8, v27
	v_sub_f32_e32 v28, v9, v63
	v_fma_f32 v6, v6, 2.0, -v4
	v_fma_f32 v7, v7, 2.0, -v5
	;; [unrolled: 1-line block ×12, first 2 shown]
	ds_write2_b64 v106, v[6:7], v[4:5] offset1:17
	ds_write2_b64 v105, v[12:13], v[10:11] offset1:17
	;; [unrolled: 1-line block ×6, first 2 shown]
	s_waitcnt lgkmcnt(0)
	s_barrier
	buffer_gl0_inv
	s_clause 0x2
	global_load_dwordx4 v[12:15], v[37:38], off offset:136
	global_load_dwordx4 v[8:11], v[37:38], off offset:152
	;; [unrolled: 1-line block ×3, first 2 shown]
	v_mul_i32_i24_e32 v40, 0xffffffd8, v97
	v_mul_hi_i32_i24_e32 v39, 0xffffffd8, v97
	ds_read2_b64 v[17:20], v99 offset0:68 offset1:102
	ds_read2_b64 v[21:24], v99 offset0:136 offset1:170
	;; [unrolled: 1-line block ×5, first 2 shown]
	ds_read2_b64 v[61:64], v99 offset1:34
	v_add_co_u32 v41, s0, v37, v40
	v_add_co_ci_u32_e64 v42, s0, v38, v39, s0
	ds_read2_b64 v[37:40], v16 offset0:152 offset1:186
	v_add_co_u32 v67, s0, 0x800, v41
	v_add_co_ci_u32_e64 v68, s0, 0, v42, s0
	s_waitcnt vmcnt(0) lgkmcnt(0)
	s_barrier
	buffer_gl0_inv
	v_mul_f32_e32 v43, v18, v13
	v_mul_f32_e32 v65, v17, v13
	;; [unrolled: 1-line block ×24, first 2 shown]
	v_fma_f32 v17, v17, v12, -v43
	v_fmac_f32_e32 v65, v18, v12
	v_fma_f32 v18, v21, v14, -v66
	v_fmac_f32_e32 v69, v22, v14
	;; [unrolled: 2-line block ×12, first 2 shown]
	v_add_f32_e32 v29, v17, v26
	v_add_f32_e32 v30, v65, v77
	v_add_f32_e32 v31, v18, v25
	v_add_f32_e32 v32, v69, v75
	v_sub_f32_e32 v17, v17, v26
	v_sub_f32_e32 v26, v65, v77
	;; [unrolled: 1-line block ×4, first 2 shown]
	v_add_f32_e32 v33, v21, v22
	v_add_f32_e32 v34, v71, v73
	v_sub_f32_e32 v21, v22, v21
	v_sub_f32_e32 v22, v73, v71
	v_add_f32_e32 v35, v19, v28
	v_add_f32_e32 v36, v79, v89
	;; [unrolled: 1-line block ×4, first 2 shown]
	v_sub_f32_e32 v19, v19, v28
	v_sub_f32_e32 v28, v79, v89
	;; [unrolled: 1-line block ×4, first 2 shown]
	v_add_f32_e32 v39, v23, v24
	v_add_f32_e32 v40, v83, v85
	v_sub_f32_e32 v23, v24, v23
	v_sub_f32_e32 v24, v85, v83
	v_add_f32_e32 v43, v31, v29
	v_add_f32_e32 v65, v32, v30
	v_sub_f32_e32 v66, v31, v29
	v_sub_f32_e32 v69, v32, v30
	;; [unrolled: 1-line block ×6, first 2 shown]
	v_add_f32_e32 v70, v21, v18
	v_add_f32_e32 v71, v22, v25
	v_sub_f32_e32 v72, v21, v18
	v_sub_f32_e32 v73, v22, v25
	;; [unrolled: 1-line block ×4, first 2 shown]
	v_add_f32_e32 v18, v37, v35
	v_add_f32_e32 v75, v38, v36
	v_sub_f32_e32 v76, v37, v35
	v_sub_f32_e32 v77, v38, v36
	;; [unrolled: 1-line block ×6, first 2 shown]
	v_add_f32_e32 v78, v23, v20
	v_add_f32_e32 v79, v24, v27
	v_sub_f32_e32 v80, v23, v20
	v_sub_f32_e32 v81, v24, v27
	;; [unrolled: 1-line block ×4, first 2 shown]
	v_add_f32_e32 v33, v33, v43
	v_add_f32_e32 v34, v34, v65
	v_sub_f32_e32 v21, v17, v21
	v_sub_f32_e32 v22, v26, v22
	v_add_f32_e32 v43, v70, v17
	v_add_f32_e32 v26, v71, v26
	v_mul_f32_e32 v20, 0x3f4a47b2, v29
	v_mul_f32_e32 v29, 0x3f4a47b2, v30
	;; [unrolled: 1-line block ×8, first 2 shown]
	v_add_f32_e32 v39, v39, v18
	v_add_f32_e32 v40, v40, v75
	v_sub_f32_e32 v23, v19, v23
	v_sub_f32_e32 v24, v28, v24
	v_add_f32_e32 v75, v78, v19
	v_add_f32_e32 v28, v79, v28
	v_mul_f32_e32 v35, 0x3f4a47b2, v35
	v_mul_f32_e32 v36, 0x3f4a47b2, v36
	v_mul_f32_e32 v78, 0x3d64c772, v37
	v_mul_f32_e32 v79, 0x3d64c772, v38
	v_mul_f32_e32 v80, 0xbf08b237, v80
	v_mul_f32_e32 v81, 0xbf08b237, v81
	v_mul_f32_e32 v83, 0x3f5ff5aa, v82
	v_mul_f32_e32 v84, 0x3f5ff5aa, v27
	v_add_f32_e32 v17, v61, v33
	v_add_f32_e32 v18, v62, v34
	v_fmamk_f32 v31, v31, 0x3d64c772, v20
	v_fmamk_f32 v32, v32, 0x3d64c772, v29
	v_fma_f32 v30, 0x3f3bfb3b, v66, -v30
	v_fma_f32 v61, 0x3f3bfb3b, v69, -v65
	;; [unrolled: 1-line block ×4, first 2 shown]
	v_fmamk_f32 v65, v21, 0x3eae86e6, v70
	v_fmamk_f32 v66, v22, 0x3eae86e6, v71
	v_fma_f32 v69, 0x3f5ff5aa, v74, -v70
	v_fma_f32 v70, 0x3f5ff5aa, v25, -v71
	;; [unrolled: 1-line block ×4, first 2 shown]
	v_add_f32_e32 v19, v63, v39
	v_add_f32_e32 v20, v64, v40
	v_fmamk_f32 v21, v37, 0x3d64c772, v35
	v_fmamk_f32 v22, v38, 0x3d64c772, v36
	v_fma_f32 v25, 0x3f3bfb3b, v76, -v78
	v_fma_f32 v37, 0x3f3bfb3b, v77, -v79
	;; [unrolled: 1-line block ×4, first 2 shown]
	v_fmamk_f32 v64, v23, 0x3eae86e6, v80
	v_fmamk_f32 v63, v24, 0x3eae86e6, v81
	v_fma_f32 v76, 0xbeae86e6, v23, -v83
	v_fma_f32 v77, 0xbeae86e6, v24, -v84
	v_fmamk_f32 v23, v33, 0xbf955555, v17
	v_fmamk_f32 v24, v34, 0xbf955555, v18
	v_fma_f32 v74, 0x3f5ff5aa, v27, -v81
	v_fma_f32 v73, 0x3f5ff5aa, v82, -v80
	v_fmac_f32_e32 v66, 0x3ee1c552, v26
	v_fmac_f32_e32 v70, 0x3ee1c552, v26
	;; [unrolled: 1-line block ×3, first 2 shown]
	v_fmamk_f32 v26, v39, 0xbf955555, v19
	v_fmamk_f32 v27, v40, 0xbf955555, v20
	v_fmac_f32_e32 v65, 0x3ee1c552, v43
	v_add_f32_e32 v31, v31, v23
	v_add_f32_e32 v32, v32, v24
	v_fmac_f32_e32 v69, 0x3ee1c552, v43
	v_fmac_f32_e32 v71, 0x3ee1c552, v43
	;; [unrolled: 1-line block ×5, first 2 shown]
	v_add_f32_e32 v28, v30, v23
	v_add_f32_e32 v30, v61, v24
	;; [unrolled: 1-line block ×4, first 2 shown]
	v_fmac_f32_e32 v64, 0x3ee1c552, v75
	v_fmac_f32_e32 v73, 0x3ee1c552, v75
	;; [unrolled: 1-line block ×3, first 2 shown]
	v_add_f32_e32 v43, v21, v26
	v_add_f32_e32 v75, v22, v27
	;; [unrolled: 1-line block ×7, first 2 shown]
	v_sub_f32_e32 v22, v32, v65
	v_add_f32_e32 v23, v72, v33
	v_sub_f32_e32 v24, v34, v71
	v_sub_f32_e32 v25, v28, v70
	v_add_f32_e32 v26, v69, v30
	v_add_f32_e32 v27, v70, v28
	v_sub_f32_e32 v28, v30, v69
	v_sub_f32_e32 v29, v33, v72
	v_add_f32_e32 v30, v71, v34
	v_sub_f32_e32 v31, v31, v66
	v_add_f32_e32 v32, v65, v32
	v_add_f32_e32 v33, v63, v43
	v_sub_f32_e32 v34, v75, v64
	v_add_f32_e32 v35, v77, v61
	v_sub_f32_e32 v36, v62, v76
	v_sub_f32_e32 v61, v61, v77
	v_add_f32_e32 v62, v76, v62
	v_sub_f32_e32 v63, v43, v63
	v_add_f32_e32 v64, v64, v75
	;; [unrolled: 2-line block ×3, first 2 shown]
	v_add_f32_e32 v39, v74, v39
	v_sub_f32_e32 v40, v40, v73
	ds_write2_b64 v99, v[17:18], v[21:22] offset1:34
	ds_write2_b64 v99, v[23:24], v[25:26] offset0:68 offset1:102
	ds_write2_b64 v99, v[27:28], v[29:30] offset0:136 offset1:170
	;; [unrolled: 1-line block ×6, first 2 shown]
	s_waitcnt lgkmcnt(0)
	s_barrier
	buffer_gl0_inv
	s_clause 0x6
	global_load_dwordx2 v[73:74], v[41:42], off offset:1768
	global_load_dwordx2 v[71:72], v[41:42], off offset:2040
	;; [unrolled: 1-line block ×7, first 2 shown]
	ds_read2_b64 v[20:23], v99 offset0:204 offset1:238
	ds_read2_b64 v[24:27], v16 offset0:16 offset1:50
	;; [unrolled: 1-line block ×4, first 2 shown]
	ds_read2_b64 v[76:79], v99 offset1:34
	ds_read2_b64 v[80:83], v99 offset0:68 offset1:102
	ds_read2_b64 v[84:87], v99 offset0:136 offset1:170
	v_add_nc_u32_e32 v88, 0x400, v108
	v_add_nc_u32_e32 v75, v107, v98
	s_waitcnt vmcnt(6) lgkmcnt(6)
	v_mul_f32_e32 v32, v23, v74
	v_mul_f32_e32 v33, v22, v74
	s_waitcnt vmcnt(5) lgkmcnt(5)
	v_mul_f32_e32 v34, v25, v72
	v_mul_f32_e32 v35, v24, v72
	s_waitcnt vmcnt(4)
	v_mul_f32_e32 v36, v27, v66
	v_mul_f32_e32 v37, v26, v66
	s_waitcnt vmcnt(3) lgkmcnt(4)
	v_mul_f32_e32 v38, v29, v70
	v_mul_f32_e32 v40, v28, v70
	s_waitcnt vmcnt(2)
	;; [unrolled: 6-line block ×3, first 2 shown]
	v_mul_f32_e32 v43, v19, v68
	v_mul_f32_e32 v90, v18, v68
	v_fma_f32 v22, v22, v73, -v32
	v_fmac_f32_e32 v33, v23, v73
	v_fma_f32 v23, v24, v71, -v34
	v_fmac_f32_e32 v35, v25, v71
	;; [unrolled: 2-line block ×7, first 2 shown]
	s_waitcnt lgkmcnt(2)
	v_sub_f32_e32 v18, v76, v22
	v_sub_f32_e32 v19, v77, v33
	v_sub_f32_e32 v42, v78, v23
	v_sub_f32_e32 v43, v79, v35
	s_waitcnt lgkmcnt(1)
	v_sub_f32_e32 v38, v80, v24
	v_sub_f32_e32 v39, v81, v37
	v_sub_f32_e32 v34, v82, v25
	v_sub_f32_e32 v35, v83, v40
	;; [unrolled: 5-line block ×3, first 2 shown]
	v_sub_f32_e32 v22, v20, v17
	v_sub_f32_e32 v23, v21, v90
	v_fma_f32 v16, v76, 2.0, -v18
	v_fma_f32 v17, v77, 2.0, -v19
	;; [unrolled: 1-line block ×14, first 2 shown]
	ds_write2_b64 v88, v[18:19], v[42:43] offset0:110 offset1:144
	ds_write2_b64 v108, v[16:17], v[40:41] offset1:34
	ds_write_b64 v108, v[36:37] offset:544
	ds_write_b64 v75, v[38:39] offset:2448
	;; [unrolled: 1-line block ×10, first 2 shown]
	s_waitcnt lgkmcnt(0)
	s_barrier
	buffer_gl0_inv
	s_and_saveexec_b32 s1, vcc_lo
	s_cbranch_execz .LBB0_9
; %bb.8:
	s_add_u32 s2, s12, 0xee0
	s_addc_u32 s3, s13, 0
	v_add_co_u32 v76, s0, s2, v94
	v_add_co_ci_u32_e64 v77, null, s3, 0, s0
	s_clause 0x9
	global_load_dwordx2 v[125:126], v94, s[2:3]
	global_load_dwordx2 v[127:128], v94, s[2:3] offset:224
	global_load_dwordx2 v[129:130], v94, s[2:3] offset:448
	;; [unrolled: 1-line block ×9, first 2 shown]
	v_add_co_u32 v76, s0, 0x800, v76
	v_add_co_ci_u32_e64 v77, s0, 0, v77, s0
	v_or_b32_e32 v78, 0xe00, v94
	v_add_nc_u32_e32 v163, 0x800, v108
	s_clause 0x6
	global_load_dwordx2 v[145:146], v[76:77], off offset:192
	global_load_dwordx2 v[147:148], v[76:77], off offset:416
	;; [unrolled: 1-line block ×6, first 2 shown]
	global_load_dwordx2 v[157:158], v78, s[2:3]
	ds_read2_b64 v[76:79], v108 offset1:28
	ds_read2_b64 v[80:83], v108 offset0:56 offset1:84
	ds_read2_b64 v[84:87], v108 offset0:112 offset1:140
	ds_read2_b64 v[88:91], v108 offset0:168 offset1:196
	ds_read2_b64 v[109:112], v108 offset0:224 offset1:252
	ds_read_b64 v[159:160], v108 offset:3584
	ds_read2_b64 v[113:116], v163 offset0:24 offset1:52
	ds_read2_b64 v[117:120], v163 offset0:80 offset1:108
	;; [unrolled: 1-line block ×3, first 2 shown]
	s_waitcnt vmcnt(16) lgkmcnt(8)
	v_mul_f32_e32 v161, v77, v126
	v_mul_f32_e32 v162, v76, v126
	s_waitcnt vmcnt(15)
	v_mul_f32_e32 v164, v79, v128
	v_mul_f32_e32 v126, v78, v128
	s_waitcnt vmcnt(14) lgkmcnt(7)
	v_mul_f32_e32 v165, v81, v130
	v_mul_f32_e32 v128, v80, v130
	s_waitcnt vmcnt(13)
	v_mul_f32_e32 v166, v83, v132
	v_mul_f32_e32 v130, v82, v132
	;; [unrolled: 6-line block ×5, first 2 shown]
	v_fma_f32 v161, v76, v125, -v161
	v_fmac_f32_e32 v162, v77, v125
	v_fma_f32 v125, v78, v127, -v164
	v_fmac_f32_e32 v126, v79, v127
	s_waitcnt vmcnt(6) lgkmcnt(2)
	v_mul_f32_e32 v76, v114, v146
	v_mul_f32_e32 v77, v113, v146
	s_waitcnt vmcnt(5)
	v_mul_f32_e32 v78, v116, v148
	v_mul_f32_e32 v79, v115, v148
	v_fma_f32 v127, v80, v129, -v165
	v_fmac_f32_e32 v128, v81, v129
	v_fma_f32 v129, v82, v131, -v166
	v_fmac_f32_e32 v130, v83, v131
	s_waitcnt vmcnt(4) lgkmcnt(1)
	v_mul_f32_e32 v80, v118, v150
	v_mul_f32_e32 v81, v117, v150
	s_waitcnt vmcnt(3)
	v_mul_f32_e32 v82, v120, v152
	v_mul_f32_e32 v83, v119, v152
	;; [unrolled: 10-line block ×3, first 2 shown]
	v_fma_f32 v135, v88, v137, -v169
	v_fmac_f32_e32 v136, v89, v137
	s_waitcnt vmcnt(0)
	v_mul_f32_e32 v88, v160, v158
	v_mul_f32_e32 v89, v159, v158
	v_fma_f32 v137, v90, v139, -v170
	v_fmac_f32_e32 v138, v91, v139
	v_fma_f32 v91, v109, v141, -v171
	v_fmac_f32_e32 v92, v110, v141
	;; [unrolled: 2-line block ×10, first 2 shown]
	ds_write2_b64 v108, v[161:162], v[125:126] offset1:28
	ds_write2_b64 v108, v[127:128], v[129:130] offset0:56 offset1:84
	ds_write2_b64 v108, v[131:132], v[133:134] offset0:112 offset1:140
	;; [unrolled: 1-line block ×7, first 2 shown]
	ds_write_b64 v108, v[88:89] offset:3584
.LBB0_9:
	s_or_b32 exec_lo, exec_lo, s1
	s_waitcnt lgkmcnt(0)
	s_barrier
	buffer_gl0_inv
	s_and_saveexec_b32 s0, vcc_lo
	s_cbranch_execz .LBB0_11
; %bb.10:
	v_add_nc_u32_e32 v0, 0x800, v108
	ds_read2_b64 v[16:19], v108 offset1:28
	ds_read2_b64 v[40:43], v108 offset0:56 offset1:84
	ds_read2_b64 v[36:39], v108 offset0:112 offset1:140
	;; [unrolled: 1-line block ×7, first 2 shown]
	ds_read_b64 v[45:46], v108 offset:3584
.LBB0_11:
	s_or_b32 exec_lo, exec_lo, s0
	v_add_nc_u32_e32 v113, 0x220, v75
	v_add_nc_u32_e32 v112, 0x330, v75
	;; [unrolled: 1-line block ×5, first 2 shown]
	s_waitcnt lgkmcnt(0)
	s_barrier
	buffer_gl0_inv
	s_and_saveexec_b32 s0, vcc_lo
	s_cbranch_execz .LBB0_13
; %bb.12:
	v_sub_f32_e32 v119, v18, v45
	v_add_f32_e32 v144, v46, v19
	v_sub_f32_e32 v116, v40, v2
	v_add_f32_e32 v143, v3, v41
	v_sub_f32_e32 v114, v42, v0
	v_mul_f32_e32 v88, 0xbf763a35, v119
	v_add_f32_e32 v142, v1, v43
	v_mul_f32_e32 v92, 0x3f06c442, v116
	v_sub_f32_e32 v115, v36, v22
	v_mul_f32_e32 v146, 0x3f2c7751, v114
	v_fmamk_f32 v75, v144, 0xbe8c1d8e, v88
	v_add_f32_e32 v139, v23, v37
	v_fmamk_f32 v76, v143, 0xbf59a7d5, v92
	v_sub_f32_e32 v117, v38, v20
	v_mul_f32_e32 v149, 0xbf65296c, v115
	v_add_f32_e32 v75, v17, v75
	v_fmamk_f32 v77, v142, 0x3f3d2fb0, v146
	v_sub_f32_e32 v133, v19, v46
	v_add_f32_e32 v140, v21, v39
	v_sub_f32_e32 v118, v32, v26
	v_add_f32_e32 v75, v76, v75
	v_add_f32_e32 v122, v45, v18
	v_mul_f32_e32 v150, 0xbe3c28d5, v117
	v_fmamk_f32 v76, v139, 0x3ee437d1, v149
	v_sub_f32_e32 v130, v41, v3
	v_add_f32_e32 v75, v77, v75
	v_mul_f32_e32 v152, 0xbf763a35, v133
	v_add_f32_e32 v141, v27, v33
	v_mul_f32_e32 v151, 0x3f7ee86f, v118
	v_fmamk_f32 v77, v140, 0xbf7ba420, v150
	v_add_f32_e32 v75, v76, v75
	v_add_f32_e32 v123, v2, v40
	v_mul_f32_e32 v87, 0x3f06c442, v130
	v_fma_f32 v78, 0xbe8c1d8e, v122, -v152
	v_sub_f32_e32 v131, v43, v1
	v_fmamk_f32 v76, v141, 0x3dbcf732, v151
	v_add_f32_e32 v75, v77, v75
	v_fma_f32 v77, 0xbf59a7d5, v123, -v87
	v_add_f32_e32 v78, v16, v78
	v_add_f32_e32 v124, v0, v42
	v_mul_f32_e32 v90, 0x3f2c7751, v131
	v_sub_f32_e32 v132, v37, v23
	v_add_f32_e32 v75, v76, v75
	v_add_f32_e32 v76, v77, v78
	;; [unrolled: 1-line block ×3, first 2 shown]
	v_fma_f32 v77, 0x3f3d2fb0, v124, -v90
	v_mul_f32_e32 v91, 0xbf65296c, v132
	v_sub_f32_e32 v134, v39, v21
	v_sub_f32_e32 v120, v34, v24
	v_add_f32_e32 v126, v20, v38
	v_add_f32_e32 v76, v77, v76
	v_fma_f32 v77, 0x3ee437d1, v125, -v91
	v_mul_f32_e32 v148, 0xbe3c28d5, v134
	v_mul_f32_e32 v89, 0xbeb8f4ab, v120
	v_add_f32_e32 v137, v25, v35
	v_sub_f32_e32 v135, v33, v27
	v_add_f32_e32 v76, v77, v76
	v_fma_f32 v77, 0xbf7ba420, v126, -v148
	v_mul_f32_e32 v85, 0xbf4c4adb, v119
	v_fmamk_f32 v78, v137, 0x3f6eb680, v89
	v_sub_f32_e32 v121, v28, v30
	v_add_f32_e32 v128, v26, v32
	v_mul_f32_e32 v153, 0x3f7ee86f, v135
	v_add_f32_e32 v76, v77, v76
	v_sub_f32_e32 v136, v35, v25
	v_fmamk_f32 v77, v144, 0xbf1a4643, v85
	v_mul_f32_e32 v86, 0x3f763a35, v116
	v_add_f32_e32 v75, v78, v75
	v_mul_f32_e32 v147, 0xbf4c4adb, v121
	v_add_f32_e32 v138, v31, v29
	v_fma_f32 v78, 0x3dbcf732, v128, -v153
	v_add_f32_e32 v127, v24, v34
	v_mul_f32_e32 v154, 0xbeb8f4ab, v136
	v_add_f32_e32 v77, v17, v77
	v_fmamk_f32 v79, v143, 0xbe8c1d8e, v86
	v_mul_f32_e32 v155, 0xbeb8f4ab, v114
	v_fmamk_f32 v80, v138, 0xbf1a4643, v147
	v_add_f32_e32 v78, v78, v76
	v_fma_f32 v81, 0x3f6eb680, v127, -v154
	v_add_f32_e32 v77, v79, v77
	v_fmamk_f32 v79, v142, 0x3f6eb680, v155
	v_mul_f32_e32 v156, 0xbf06c442, v115
	v_add_f32_e32 v76, v80, v75
	v_add_f32_e32 v75, v81, v78
	v_mul_f32_e32 v157, 0x3f7ee86f, v117
	v_add_f32_e32 v77, v79, v77
	v_fmamk_f32 v78, v139, 0xbf59a7d5, v156
	v_mul_f32_e32 v158, 0xbf4c4adb, v133
	v_mul_f32_e32 v159, 0xbf2c7751, v118
	;; [unrolled: 1-line block ×4, first 2 shown]
	v_add_f32_e32 v77, v78, v77
	v_fmamk_f32 v78, v140, 0x3dbcf732, v157
	v_fma_f32 v79, 0xbf1a4643, v122, -v158
	v_fma_f32 v80, 0xbe8c1d8e, v123, -v161
	v_mul_f32_e32 v163, 0xbeb8f4ab, v131
	v_sub_f32_e32 v145, v29, v31
	v_add_f32_e32 v77, v78, v77
	v_fmamk_f32 v78, v141, 0x3f3d2fb0, v159
	v_add_f32_e32 v79, v16, v79
	v_mul_f32_e32 v164, 0xbf06c442, v132
	v_add_f32_e32 v129, v30, v28
	v_mul_f32_e32 v160, 0xbf4c4adb, v145
	v_add_f32_e32 v77, v78, v77
	v_fmamk_f32 v78, v137, 0xbf7ba420, v162
	v_add_f32_e32 v79, v80, v79
	v_fma_f32 v80, 0x3f6eb680, v124, -v163
	v_mul_f32_e32 v83, 0xbf06c442, v119
	v_mul_f32_e32 v165, 0x3f7ee86f, v134
	v_add_f32_e32 v77, v78, v77
	v_fma_f32 v81, 0xbf1a4643, v129, -v160
	v_add_f32_e32 v78, v80, v79
	v_fma_f32 v79, 0xbf59a7d5, v125, -v164
	v_fmamk_f32 v80, v144, 0xbf59a7d5, v83
	v_mul_f32_e32 v84, 0x3f65296c, v116
	v_mul_f32_e32 v167, 0xbf2c7751, v135
	v_add_f32_e32 v75, v81, v75
	v_add_f32_e32 v78, v79, v78
	v_fma_f32 v79, 0x3dbcf732, v126, -v165
	v_mul_f32_e32 v166, 0x3f65296c, v121
	v_add_f32_e32 v80, v17, v80
	v_fmamk_f32 v81, v143, 0x3ee437d1, v84
	v_mul_f32_e32 v168, 0xbf7ee86f, v114
	v_add_f32_e32 v78, v79, v78
	v_fma_f32 v79, 0x3f3d2fb0, v128, -v167
	v_mul_f32_e32 v169, 0xbe3c28d5, v136
	v_add_f32_e32 v80, v81, v80
	v_fmamk_f32 v81, v142, 0x3dbcf732, v168
	v_mul_f32_e32 v170, 0x3f4c4adb, v115
	v_fmamk_f32 v82, v138, 0x3ee437d1, v166
	v_add_f32_e32 v79, v79, v78
	v_fma_f32 v171, 0xbf7ba420, v127, -v169
	v_add_f32_e32 v80, v81, v80
	v_fmamk_f32 v81, v139, 0xbf1a4643, v170
	v_mul_f32_e32 v172, 0xbeb8f4ab, v117
	v_add_f32_e32 v78, v82, v77
	v_add_f32_e32 v77, v171, v79
	v_mul_f32_e32 v171, 0xbf06c442, v133
	v_add_f32_e32 v79, v81, v80
	v_fmamk_f32 v80, v140, 0x3f6eb680, v172
	v_mul_f32_e32 v173, 0xbe3c28d5, v118
	v_mul_f32_e32 v175, 0x3f65296c, v130
	v_fma_f32 v81, 0xbf59a7d5, v122, -v171
	v_mul_f32_e32 v174, 0x3f65296c, v145
	v_add_f32_e32 v79, v80, v79
	v_fmamk_f32 v80, v141, 0xbf7ba420, v173
	v_mul_f32_e32 v176, 0x3f2c7751, v120
	v_add_f32_e32 v81, v16, v81
	v_fma_f32 v82, 0x3ee437d1, v123, -v175
	v_mul_f32_e32 v177, 0xbf7ee86f, v131
	v_fma_f32 v178, 0x3ee437d1, v129, -v174
	v_add_f32_e32 v79, v80, v79
	v_fmamk_f32 v80, v137, 0x3f3d2fb0, v176
	v_add_f32_e32 v81, v82, v81
	v_fma_f32 v82, 0x3dbcf732, v124, -v177
	v_mul_f32_e32 v179, 0x3f4c4adb, v132
	v_add_f32_e32 v77, v178, v77
	v_add_f32_e32 v79, v80, v79
	v_mul_f32_e32 v178, 0xbe3c28d5, v119
	v_add_f32_e32 v80, v82, v81
	v_fma_f32 v81, 0xbf1a4643, v125, -v179
	v_mul_f32_e32 v180, 0xbeb8f4ab, v134
	v_mul_f32_e32 v182, 0x3eb8f4ab, v116
	v_fmamk_f32 v82, v144, 0xbf7ba420, v178
	v_mul_f32_e32 v183, 0xbe3c28d5, v135
	v_add_f32_e32 v80, v81, v80
	v_fma_f32 v81, 0x3f6eb680, v126, -v180
	v_mul_f32_e32 v181, 0xbf763a35, v121
	v_add_f32_e32 v82, v17, v82
	v_fmamk_f32 v184, v143, 0x3f6eb680, v182
	v_mul_f32_e32 v185, 0xbf06c442, v114
	v_add_f32_e32 v80, v81, v80
	v_fma_f32 v81, 0xbf7ba420, v128, -v183
	v_mul_f32_e32 v186, 0x3f2c7751, v136
	v_add_f32_e32 v82, v184, v82
	v_fmamk_f32 v184, v142, 0xbf59a7d5, v185
	v_mul_f32_e32 v187, 0x3f2c7751, v115
	v_fmamk_f32 v188, v138, 0xbe8c1d8e, v181
	v_add_f32_e32 v81, v81, v80
	v_fma_f32 v189, 0x3f3d2fb0, v127, -v186
	v_add_f32_e32 v82, v184, v82
	v_fmamk_f32 v184, v139, 0x3f3d2fb0, v187
	v_mul_f32_e32 v190, 0xbf4c4adb, v117
	v_add_f32_e32 v80, v188, v79
	v_add_f32_e32 v79, v189, v81
	v_mul_f32_e32 v81, 0xbe3c28d5, v133
	v_add_f32_e32 v82, v184, v82
	v_fmamk_f32 v184, v140, 0xbf1a4643, v190
	v_mul_f32_e32 v188, 0x3f65296c, v118
	v_mul_f32_e32 v192, 0x3eb8f4ab, v130
	v_fma_f32 v191, 0xbf7ba420, v122, -v81
	v_mul_f32_e32 v193, 0xbf763a35, v120
	v_add_f32_e32 v82, v184, v82
	v_fmamk_f32 v184, v141, 0x3ee437d1, v188
	v_fma_f32 v194, 0x3f6eb680, v123, -v192
	v_add_f32_e32 v191, v16, v191
	v_mul_f32_e32 v195, 0xbf06c442, v131
	v_mul_f32_e32 v197, 0x3f2c7751, v132
	v_add_f32_e32 v82, v184, v82
	v_fmamk_f32 v184, v137, 0xbe8c1d8e, v193
	v_add_f32_e32 v191, v194, v191
	v_fma_f32 v194, 0xbf59a7d5, v124, -v195
	v_fma_f32 v178, 0xbf7ba420, v144, -v178
	;; [unrolled: 1-line block ×3, first 2 shown]
	v_add_f32_e32 v82, v184, v82
	v_mul_f32_e32 v198, 0x3f65296c, v135
	v_add_f32_e32 v184, v194, v191
	v_fma_f32 v191, 0x3f3d2fb0, v125, -v197
	v_mul_f32_e32 v194, 0xbf4c4adb, v134
	v_add_f32_e32 v178, v17, v178
	v_fmac_f32_e32 v81, 0xbf7ba420, v122
	v_fmac_f32_e32 v192, 0x3f6eb680, v123
	v_add_f32_e32 v184, v191, v184
	v_fma_f32 v191, 0xbf1a4643, v126, -v194
	v_add_f32_e32 v178, v182, v178
	v_fma_f32 v182, 0xbf59a7d5, v142, -v185
	v_fma_f32 v185, 0x3ee437d1, v128, -v198
	;; [unrolled: 1-line block ×3, first 2 shown]
	v_add_f32_e32 v184, v191, v184
	v_mul_f32_e32 v191, 0xbf763a35, v136
	v_add_f32_e32 v178, v182, v178
	v_fma_f32 v182, 0x3f3d2fb0, v139, -v187
	v_mul_f32_e32 v187, 0x3f7ee86f, v145
	v_add_f32_e32 v184, v185, v184
	v_fma_f32 v185, 0xbe8c1d8e, v127, -v191
	v_fmac_f32_e32 v195, 0xbf59a7d5, v124
	v_add_f32_e32 v178, v182, v178
	v_fma_f32 v182, 0xbf1a4643, v140, -v190
	v_add_f32_e32 v190, v16, v81
	v_add_f32_e32 v184, v185, v184
	v_fma_f32 v185, 0x3dbcf732, v129, -v187
	v_add_f32_e32 v83, v17, v83
	v_fma_f32 v84, 0x3ee437d1, v143, -v84
	v_fmac_f32_e32 v197, 0x3f3d2fb0, v125
	v_fma_f32 v168, 0x3dbcf732, v142, -v168
	v_add_f32_e32 v81, v185, v184
	v_add_f32_e32 v184, v192, v190
	;; [unrolled: 1-line block ×3, first 2 shown]
	v_fmac_f32_e32 v194, 0xbf1a4643, v126
	v_fmac_f32_e32 v171, 0xbf59a7d5, v122
	;; [unrolled: 1-line block ×3, first 2 shown]
	v_add_f32_e32 v184, v195, v184
	v_add_f32_e32 v83, v168, v83
	v_fma_f32 v168, 0xbf1a4643, v139, -v170
	v_add_f32_e32 v171, v16, v171
	v_fmac_f32_e32 v175, 0x3ee437d1, v123
	v_add_f32_e32 v184, v197, v184
	v_fmac_f32_e32 v191, 0xbe8c1d8e, v127
	v_add_f32_e32 v83, v168, v83
	v_fma_f32 v168, 0x3f6eb680, v140, -v172
	v_add_f32_e32 v171, v175, v171
	v_add_f32_e32 v170, v194, v184
	v_fmac_f32_e32 v177, 0x3dbcf732, v124
	v_fmac_f32_e32 v187, 0x3dbcf732, v129
	v_add_f32_e32 v83, v168, v83
	v_fma_f32 v168, 0xbf7ba420, v141, -v173
	v_add_f32_e32 v170, v198, v170
	v_add_f32_e32 v171, v177, v171
	v_fmac_f32_e32 v179, 0xbf1a4643, v125
	v_fma_f32 v172, 0x3f3d2fb0, v137, -v176
	v_add_f32_e32 v168, v168, v83
	v_add_f32_e32 v170, v191, v170
	v_fma_f32 v85, 0xbf1a4643, v144, -v85
	v_fmac_f32_e32 v180, 0x3f6eb680, v126
	v_fmac_f32_e32 v183, 0xbf7ba420, v128
	v_add_f32_e32 v168, v172, v168
	v_add_f32_e32 v83, v187, v170
	;; [unrolled: 1-line block ×3, first 2 shown]
	v_fma_f32 v171, 0xbe8c1d8e, v138, -v181
	v_add_f32_e32 v85, v17, v85
	v_fma_f32 v172, 0xbe8c1d8e, v143, -v86
	v_fmac_f32_e32 v158, 0xbf1a4643, v122
	v_add_f32_e32 v170, v180, v170
	v_mul_f32_e32 v189, 0xbf763a35, v145
	v_add_f32_e32 v86, v171, v168
	v_add_f32_e32 v85, v172, v85
	v_fma_f32 v155, 0x3f6eb680, v142, -v155
	v_add_f32_e32 v168, v183, v170
	v_fmac_f32_e32 v186, 0x3f3d2fb0, v127
	v_add_f32_e32 v158, v16, v158
	v_fmac_f32_e32 v161, 0xbe8c1d8e, v123
	v_fma_f32 v196, 0xbe8c1d8e, v129, -v189
	v_add_f32_e32 v85, v155, v85
	v_fma_f32 v155, 0xbf59a7d5, v139, -v156
	v_add_f32_e32 v156, v186, v168
	v_fmac_f32_e32 v189, 0xbe8c1d8e, v129
	v_add_f32_e32 v158, v161, v158
	v_fmac_f32_e32 v163, 0x3f6eb680, v124
	v_fma_f32 v88, 0xbe8c1d8e, v144, -v88
	v_add_f32_e32 v155, v155, v85
	v_add_f32_e32 v85, v189, v156
	v_fmac_f32_e32 v164, 0xbf59a7d5, v125
	v_add_f32_e32 v156, v163, v158
	v_add_f32_e32 v88, v17, v88
	v_fma_f32 v92, 0xbf59a7d5, v143, -v92
	v_fmac_f32_e32 v165, 0x3dbcf732, v126
	v_fmac_f32_e32 v167, 0x3f3d2fb0, v128
	v_add_f32_e32 v156, v164, v156
	v_fma_f32 v149, 0x3ee437d1, v139, -v149
	v_add_f32_e32 v88, v92, v88
	v_fma_f32 v92, 0x3f3d2fb0, v142, -v146
	v_fmac_f32_e32 v169, 0xbf7ba420, v127
	v_add_f32_e32 v146, v165, v156
	v_fmac_f32_e32 v152, 0xbe8c1d8e, v122
	v_fmac_f32_e32 v87, 0xbf59a7d5, v123
	v_add_f32_e32 v92, v92, v88
	v_fmac_f32_e32 v174, 0x3ee437d1, v129
	v_add_f32_e32 v146, v167, v146
	v_fmac_f32_e32 v90, 0x3f3d2fb0, v124
	v_fma_f32 v157, 0x3dbcf732, v140, -v157
	v_add_f32_e32 v92, v149, v92
	v_fma_f32 v149, 0xbf7ba420, v140, -v150
	v_add_f32_e32 v146, v169, v146
	v_add_f32_e32 v150, v16, v152
	v_fmac_f32_e32 v91, 0x3ee437d1, v125
	v_fma_f32 v89, 0x3f6eb680, v137, -v89
	v_add_f32_e32 v92, v149, v92
	v_fma_f32 v149, 0x3dbcf732, v141, -v151
	v_mul_f32_e32 v151, 0x3dbcf732, v144
	v_add_f32_e32 v150, v87, v150
	v_add_f32_e32 v87, v174, v146
	v_mul_f32_e32 v152, 0xbe8c1d8e, v142
	v_add_f32_e32 v92, v149, v92
	v_fmamk_f32 v146, v119, 0x3f7ee86f, v151
	v_mul_f32_e32 v149, 0xbf7ba420, v143
	v_add_f32_e32 v90, v90, v150
	v_add_f32_e32 v155, v157, v155
	v_fma_f32 v157, 0x3f3d2fb0, v141, -v159
	v_add_f32_e32 v146, v17, v146
	v_fmamk_f32 v150, v116, 0x3e3c28d5, v149
	v_add_f32_e32 v90, v91, v90
	v_fmac_f32_e32 v148, 0xbf7ba420, v126
	v_add_f32_e32 v89, v89, v92
	v_fmamk_f32 v92, v114, 0xbf763a35, v152
	v_add_f32_e32 v91, v150, v146
	v_mul_f32_e32 v150, 0x3f6eb680, v139
	v_add_f32_e32 v155, v157, v155
	v_fma_f32 v157, 0xbf7ba420, v137, -v162
	v_add_f32_e32 v90, v148, v90
	v_fmac_f32_e32 v153, 0x3dbcf732, v128
	v_fma_f32 v146, 0xbf1a4643, v138, -v147
	v_add_f32_e32 v91, v92, v91
	v_fmamk_f32 v92, v115, 0xbeb8f4ab, v150
	v_mul_f32_e32 v148, 0x3ee437d1, v140
	v_add_f32_e32 v155, v157, v155
	v_fma_f32 v156, 0x3ee437d1, v138, -v166
	v_add_f32_e32 v147, v153, v90
	v_fmac_f32_e32 v154, 0x3f6eb680, v127
	v_add_f32_e32 v90, v146, v89
	v_add_f32_e32 v89, v92, v91
	v_fmamk_f32 v91, v117, 0x3f65296c, v148
	v_mul_f32_e32 v153, 0xbf59a7d5, v141
	v_add_f32_e32 v88, v156, v155
	v_add_f32_e32 v92, v154, v147
	v_fmac_f32_e32 v160, 0xbf1a4643, v129
	v_mul_f32_e32 v154, 0xbf7ee86f, v133
	v_add_f32_e32 v91, v91, v89
	v_fmamk_f32 v146, v118, 0x3f06c442, v153
	v_mul_f32_e32 v155, 0xbf1a4643, v137
	v_add_f32_e32 v89, v160, v92
	v_fmamk_f32 v92, v122, 0x3dbcf732, v154
	;; [unrolled: 3-line block ×17, first 2 shown]
	v_add_f32_e32 v178, v182, v178
	v_fma_f32 v182, 0x3ee437d1, v141, -v188
	v_add_f32_e32 v91, v147, v146
	v_add_f32_e32 v19, v19, v17
	;; [unrolled: 1-line block ×3, first 2 shown]
	v_fmamk_f32 v163, v120, 0x3f7ee86f, v173
	v_mul_f32_e32 v172, 0xbf59a7d5, v138
	v_add_f32_e32 v79, v196, v79
	v_mul_f32_e32 v196, 0x3f7ee86f, v121
	v_add_f32_e32 v178, v182, v178
	v_fma_f32 v182, 0xbe8c1d8e, v137, -v193
	v_add_f32_e32 v147, v163, v147
	v_fmamk_f32 v163, v121, 0x3f06c442, v172
	v_mul_f32_e32 v177, 0x3f3d2fb0, v144
	v_add_f32_e32 v19, v41, v19
	v_add_f32_e32 v178, v182, v178
	v_fma_f32 v182, 0x3dbcf732, v138, -v196
	v_add_f32_e32 v147, v163, v147
	v_fmamk_f32 v163, v119, 0x3f2c7751, v177
	v_mul_f32_e32 v179, 0x3dbcf732, v143
	v_add_f32_e32 v18, v18, v16
	v_add_f32_e32 v19, v43, v19
	;; [unrolled: 1-line block ×4, first 2 shown]
	v_fmamk_f32 v181, v116, 0x3f7ee86f, v179
	v_mul_f32_e32 v182, 0xbf1a4643, v142
	v_add_f32_e32 v18, v40, v18
	v_add_f32_e32 v19, v37, v19
	v_mul_f32_e32 v184, 0xbf7ba420, v139
	v_add_f32_e32 v163, v181, v163
	v_fmamk_f32 v181, v114, 0x3f4c4adb, v182
	v_add_f32_e32 v18, v42, v18
	v_add_f32_e32 v19, v39, v19
	v_mul_f32_e32 v186, 0xbf59a7d5, v140
	v_mul_f32_e32 v188, 0xbe8c1d8e, v141
	v_add_f32_e32 v163, v181, v163
	v_fmamk_f32 v181, v115, 0x3e3c28d5, v184
	v_add_f32_e32 v18, v36, v18
	v_add_f32_e32 v19, v33, v19
	v_mul_f32_e32 v190, 0x3ee437d1, v137
	;; [unrolled: 6-line block ×3, first 2 shown]
	v_fmac_f32_e32 v151, 0xbf7ee86f, v119
	v_add_f32_e32 v163, v181, v163
	v_fmamk_f32 v181, v118, 0xbf763a35, v188
	v_add_f32_e32 v18, v32, v18
	v_add_f32_e32 v19, v29, v19
	v_mul_f32_e32 v142, 0x3ee437d1, v142
	v_fmac_f32_e32 v149, 0xbe3c28d5, v116
	v_add_f32_e32 v163, v181, v163
	v_fmamk_f32 v181, v120, 0xbf65296c, v190
	v_add_f32_e32 v18, v34, v18
	v_add_f32_e32 v31, v31, v19
	v_mul_f32_e32 v139, 0x3dbcf732, v139
	;; [unrolled: 6-line block ×3, first 2 shown]
	v_fmac_f32_e32 v150, 0x3eb8f4ab, v115
	v_add_f32_e32 v144, v181, v163
	v_fmamk_f32 v163, v119, 0x3eb8f4ab, v195
	v_mul_f32_e32 v181, 0x3f3d2fb0, v143
	v_add_f32_e32 v18, v30, v18
	v_add_f32_e32 v25, v27, v25
	v_mul_f32_e32 v141, 0xbf1a4643, v141
	v_add_f32_e32 v163, v17, v163
	v_fmamk_f32 v197, v116, 0x3f2c7751, v181
	v_add_f32_e32 v18, v24, v18
	v_add_f32_e32 v24, v17, v151
	;; [unrolled: 1-line block ×3, first 2 shown]
	v_fmac_f32_e32 v148, 0xbf65296c, v117
	v_add_f32_e32 v163, v197, v163
	v_fmamk_f32 v197, v114, 0x3f65296c, v142
	v_add_f32_e32 v18, v26, v18
	v_add_f32_e32 v24, v149, v24
	;; [unrolled: 1-line block ×3, first 2 shown]
	v_mul_f32_e32 v171, 0xbf65296c, v133
	v_add_f32_e32 v163, v197, v163
	v_fmamk_f32 v197, v115, 0x3f7ee86f, v139
	v_add_f32_e32 v20, v20, v18
	v_add_f32_e32 v23, v152, v24
	;; [unrolled: 1-line block ×3, first 2 shown]
	v_fma_f32 v21, 0x3dbcf732, v122, -v154
	v_add_f32_e32 v163, v197, v163
	v_fmamk_f32 v197, v117, 0x3f763a35, v140
	v_add_f32_e32 v20, v22, v20
	v_add_f32_e32 v22, v150, v23
	;; [unrolled: 1-line block ×4, first 2 shown]
	v_fma_f32 v21, 0xbf7ba420, v123, -v156
	v_mul_f32_e32 v189, 0xbf2c7751, v133
	v_add_f32_e32 v163, v197, v163
	v_fmamk_f32 v197, v118, 0x3f4c4adb, v141
	v_mul_f32_e32 v133, 0xbeb8f4ab, v133
	v_add_f32_e32 v0, v0, v20
	v_add_f32_e32 v20, v148, v22
	v_fmac_f32_e32 v153, 0xbf06c442, v118
	v_add_f32_e32 v3, v21, v3
	v_fma_f32 v21, 0xbe8c1d8e, v124, -v158
	v_fmamk_f32 v146, v122, 0x3ee437d1, v171
	v_mul_f32_e32 v174, 0xbf4c4adb, v130
	v_add_f32_e32 v41, v197, v163
	v_fmamk_f32 v163, v122, 0x3f6eb680, v133
	v_mul_f32_e32 v40, 0xbf2c7751, v130
	v_add_f32_e32 v0, v2, v0
	v_add_f32_e32 v2, v153, v20
	;; [unrolled: 1-line block ×3, first 2 shown]
	v_fma_f32 v20, 0x3f6eb680, v125, -v161
	v_add_f32_e32 v146, v16, v146
	v_fmamk_f32 v175, v123, 0xbf1a4643, v174
	v_mul_f32_e32 v176, 0x3e3c28d5, v131
	v_mul_f32_e32 v191, 0xbf7ee86f, v130
	v_add_f32_e32 v130, v16, v163
	v_fmamk_f32 v37, v123, 0x3f3d2fb0, v40
	v_mul_f32_e32 v42, 0xbf65296c, v131
	v_add_f32_e32 v3, v20, v3
	v_fma_f32 v20, 0x3ee437d1, v126, -v160
	v_fma_f32 v22, 0x3ee437d1, v122, -v171
	v_add_f32_e32 v146, v175, v146
	v_fmamk_f32 v175, v124, 0xbf7ba420, v176
	v_mul_f32_e32 v178, 0x3f763a35, v132
	v_add_f32_e32 v36, v37, v130
	v_fmamk_f32 v37, v124, 0x3ee437d1, v42
	v_mul_f32_e32 v39, 0xbf7ee86f, v132
	v_fmac_f32_e32 v155, 0x3f4c4adb, v120
	v_add_f32_e32 v3, v20, v3
	v_fma_f32 v20, 0xbf59a7d5, v128, -v165
	v_add_f32_e32 v22, v16, v22
	v_fma_f32 v23, 0xbf1a4643, v123, -v174
	v_add_f32_e32 v146, v175, v146
	v_fmamk_f32 v175, v125, 0xbe8c1d8e, v178
	v_mul_f32_e32 v180, 0x3f2c7751, v134
	v_add_f32_e32 v36, v37, v36
	v_fmamk_f32 v37, v125, 0x3dbcf732, v39
	v_mul_f32_e32 v32, 0xbf763a35, v134
	v_add_f32_e32 v2, v155, v2
	v_fmac_f32_e32 v157, 0x3f2c7751, v121
	v_add_f32_e32 v20, v20, v3
	v_fma_f32 v24, 0xbf1a4643, v127, -v167
	v_add_f32_e32 v22, v23, v22
	v_fma_f32 v23, 0xbf7ba420, v124, -v176
	v_add_f32_e32 v146, v175, v146
	v_fmamk_f32 v175, v126, 0x3f3d2fb0, v180
	v_mul_f32_e32 v183, 0xbeb8f4ab, v135
	v_add_f32_e32 v36, v37, v36
	v_fmamk_f32 v29, v126, 0xbe8c1d8e, v32
	v_mul_f32_e32 v34, 0xbf4c4adb, v135
	v_add_f32_e32 v3, v157, v2
	v_add_f32_e32 v2, v24, v20
	;; [unrolled: 1-line block ×3, first 2 shown]
	v_fma_f32 v22, 0xbe8c1d8e, v125, -v178
	v_add_f32_e32 v146, v175, v146
	v_fmamk_f32 v175, v128, 0x3f6eb680, v183
	v_mul_f32_e32 v185, 0xbf7ee86f, v136
	v_add_f32_e32 v28, v29, v36
	v_fmamk_f32 v29, v128, 0xbf1a4643, v34
	v_fmac_f32_e32 v177, 0xbf2c7751, v119
	v_add_f32_e32 v20, v22, v20
	v_fma_f32 v22, 0x3f3d2fb0, v126, -v180
	v_add_f32_e32 v146, v175, v146
	v_fmamk_f32 v175, v127, 0x3dbcf732, v185
	v_mul_f32_e32 v187, 0xbf06c442, v145
	v_add_f32_e32 v28, v29, v28
	v_mul_f32_e32 v29, 0xbf06c442, v136
	v_fma_f32 v23, 0x3f3d2fb0, v129, -v169
	v_add_f32_e32 v24, v17, v177
	v_fmac_f32_e32 v179, 0xbf7ee86f, v116
	v_add_f32_e32 v20, v22, v20
	v_fma_f32 v22, 0x3f6eb680, v128, -v183
	v_add_f32_e32 v146, v175, v146
	v_fmamk_f32 v175, v129, 0xbf59a7d5, v187
	v_fmamk_f32 v27, v127, 0xbf59a7d5, v29
	v_mul_f32_e32 v30, 0xbe3c28d5, v145
	v_add_f32_e32 v2, v23, v2
	v_add_f32_e32 v23, v179, v24
	;; [unrolled: 1-line block ×3, first 2 shown]
	v_fma_f32 v22, 0x3dbcf732, v127, -v185
	v_fma_f32 v24, 0x3f3d2fb0, v122, -v189
	v_add_f32_e32 v146, v175, v146
	v_fmamk_f32 v175, v122, 0x3f3d2fb0, v189
	v_mul_f32_e32 v194, 0xbf4c4adb, v131
	v_add_f32_e32 v25, v27, v28
	v_fmamk_f32 v26, v129, 0xbf7ba420, v30
	v_add_f32_e32 v20, v22, v20
	v_add_f32_e32 v22, v16, v24
	v_fma_f32 v24, 0x3dbcf732, v123, -v191
	v_fmamk_f32 v199, v138, 0x3dbcf732, v196
	v_add_f32_e32 v175, v16, v175
	v_fmamk_f32 v193, v123, 0x3dbcf732, v191
	v_mul_f32_e32 v196, 0xbe3c28d5, v132
	v_add_f32_e32 v18, v26, v25
	v_fma_f32 v25, 0xbf59a7d5, v129, -v187
	v_add_f32_e32 v22, v24, v22
	v_fma_f32 v24, 0xbf1a4643, v124, -v194
	v_add_f32_e32 v175, v193, v175
	v_fmamk_f32 v193, v124, 0xbf1a4643, v194
	v_fmac_f32_e32 v159, 0xbf65296c, v119
	v_add_f32_e32 v20, v25, v20
	v_fmac_f32_e32 v195, 0xbeb8f4ab, v119
	v_add_f32_e32 v22, v24, v22
	v_fma_f32 v24, 0xbf7ba420, v125, -v196
	v_fma_f32 v25, 0x3f6eb680, v122, -v133
	v_add_f32_e32 v143, v193, v175
	v_mul_f32_e32 v193, 0x3f06c442, v134
	v_add_f32_e32 v21, v17, v159
	v_fmac_f32_e32 v162, 0xbf4c4adb, v116
	v_add_f32_e32 v17, v17, v195
	v_fmac_f32_e32 v181, 0xbf2c7751, v116
	v_add_f32_e32 v22, v24, v22
	v_add_f32_e32 v16, v16, v25
	v_fma_f32 v24, 0x3f3d2fb0, v123, -v40
	v_mul_f32_e32 v198, 0x3f763a35, v135
	v_add_f32_e32 v21, v162, v21
	v_fmac_f32_e32 v164, 0x3e3c28d5, v114
	v_fmac_f32_e32 v182, 0xbf4c4adb, v114
	v_fma_f32 v25, 0xbf59a7d5, v126, -v193
	v_add_f32_e32 v17, v181, v17
	v_fmac_f32_e32 v142, 0xbf65296c, v114
	v_add_f32_e32 v16, v24, v16
	v_fma_f32 v24, 0x3ee437d1, v124, -v42
	v_fmamk_f32 v175, v125, 0xbf7ba420, v196
	v_add_f32_e32 v82, v199, v82
	v_mul_f32_e32 v199, 0x3f65296c, v136
	v_add_f32_e32 v21, v164, v21
	v_fmac_f32_e32 v166, 0x3f763a35, v115
	v_add_f32_e32 v23, v182, v23
	v_fmac_f32_e32 v184, 0xbe3c28d5, v115
	v_add_f32_e32 v22, v25, v22
	v_add_f32_e32 v17, v142, v17
	v_fmac_f32_e32 v139, 0xbf7ee86f, v115
	v_fma_f32 v25, 0xbe8c1d8e, v128, -v198
	v_add_f32_e32 v16, v24, v16
	v_fma_f32 v24, 0x3dbcf732, v125, -v39
	v_add_f32_e32 v143, v175, v143
	v_fmamk_f32 v175, v126, 0xbf59a7d5, v193
	v_mul_f32_e32 v43, 0xbf59a7d5, v137
	v_add_f32_e32 v21, v166, v21
	v_fmac_f32_e32 v168, 0x3f2c7751, v117
	v_add_f32_e32 v23, v184, v23
	v_fmac_f32_e32 v186, 0x3f06c442, v117
	v_add_f32_e32 v17, v139, v17
	v_fmac_f32_e32 v140, 0xbf763a35, v117
	v_add_f32_e32 v22, v25, v22
	v_add_f32_e32 v16, v24, v16
	v_fma_f32 v24, 0xbe8c1d8e, v126, -v32
	v_fma_f32 v25, 0x3ee437d1, v127, -v199
	v_add_f32_e32 v143, v175, v143
	v_fmamk_f32 v175, v128, 0xbe8c1d8e, v198
	v_fmamk_f32 v131, v120, 0x3f06c442, v43
	v_mul_f32_e32 v35, 0xbf7ba420, v138
	v_add_f32_e32 v21, v168, v21
	v_fmac_f32_e32 v170, 0xbeb8f4ab, v118
	v_add_f32_e32 v23, v186, v23
	v_fmac_f32_e32 v188, 0x3f763a35, v118
	v_add_f32_e32 v17, v140, v17
	v_fmac_f32_e32 v141, 0xbf4c4adb, v118
	v_add_f32_e32 v16, v24, v16
	v_fma_f32 v24, 0xbf1a4643, v128, -v34
	v_add_f32_e32 v22, v25, v22
	v_mul_lo_u16 v25, v97, 17
	v_add_f32_e32 v143, v175, v143
	v_fmamk_f32 v175, v127, 0x3ee437d1, v199
	v_mul_f32_e32 v200, 0x3eb8f4ab, v145
	v_add_f32_e32 v33, v131, v41
	v_fmamk_f32 v37, v121, 0x3e3c28d5, v35
	v_add_f32_e32 v21, v170, v21
	v_fmac_f32_e32 v173, 0xbf7ee86f, v120
	v_add_f32_e32 v23, v188, v23
	v_fmac_f32_e32 v190, 0x3f65296c, v120
	;; [unrolled: 2-line block ×3, first 2 shown]
	v_add_f32_e32 v16, v24, v16
	v_fma_f32 v24, 0xbf59a7d5, v127, -v29
	v_and_b32_e32 v25, 0xffff, v25
	v_add_f32_e32 v143, v175, v143
	v_fmamk_f32 v175, v129, 0x3f6eb680, v200
	v_add_f32_e32 v19, v37, v33
	v_add_f32_e32 v1, v46, v1
	;; [unrolled: 1-line block ×4, first 2 shown]
	v_fmac_f32_e32 v172, 0xbf06c442, v121
	v_add_f32_e32 v23, v190, v23
	v_fmac_f32_e32 v192, 0x3eb8f4ab, v121
	v_fma_f32 v26, 0x3f6eb680, v129, -v200
	v_add_f32_e32 v27, v43, v17
	v_fmac_f32_e32 v35, 0xbe3c28d5, v121
	v_add_f32_e32 v24, v24, v16
	v_fma_f32 v28, 0xbf7ba420, v129, -v30
	v_lshl_add_u32 v25, v25, 3, v98
	v_add_f32_e32 v143, v175, v143
	v_add_f32_e32 v21, v172, v21
	;; [unrolled: 1-line block ×6, first 2 shown]
	ds_write2_b64 v25, v[0:1], v[18:19] offset1:1
	ds_write2_b64 v25, v[143:144], v[146:147] offset0:2 offset1:3
	ds_write2_b64 v25, v[91:92], v[89:90] offset0:4 offset1:5
	;; [unrolled: 1-line block ×7, first 2 shown]
	ds_write_b64 v25, v[22:23] offset:128
.LBB0_13:
	s_or_b32 exec_lo, exec_lo, s0
	s_waitcnt lgkmcnt(0)
	s_barrier
	buffer_gl0_inv
	ds_read2_b64 v[0:3], v99 offset0:204 offset1:238
	v_add_nc_u32_e32 v42, 0x800, v99
	ds_read2_b64 v[16:19], v42 offset0:16 offset1:50
	ds_read2_b64 v[20:23], v42 offset0:84 offset1:118
	;; [unrolled: 1-line block ×3, first 2 shown]
	ds_read2_b64 v[28:31], v99 offset1:34
	ds_read2_b64 v[32:35], v99 offset0:68 offset1:102
	ds_read2_b64 v[36:39], v99 offset0:136 offset1:170
	s_waitcnt lgkmcnt(0)
	s_barrier
	buffer_gl0_inv
	v_mul_f32_e32 v40, v60, v3
	v_mul_f32_e32 v41, v60, v2
	;; [unrolled: 1-line block ×3, first 2 shown]
	v_fmac_f32_e32 v40, v59, v2
	v_fma_f32 v3, v59, v3, -v41
	v_mul_f32_e32 v41, v54, v17
	v_mul_f32_e32 v2, v54, v16
	;; [unrolled: 1-line block ×7, first 2 shown]
	v_fmac_f32_e32 v41, v53, v16
	v_fma_f32 v17, v53, v17, -v2
	v_fmac_f32_e32 v43, v55, v18
	v_fma_f32 v53, v57, v21, -v54
	v_mul_f32_e32 v54, v48, v27
	v_mul_f32_e32 v18, v48, v26
	;; [unrolled: 1-line block ×4, first 2 shown]
	v_fmac_f32_e32 v46, v57, v20
	v_fma_f32 v45, v55, v19, -v45
	v_fmac_f32_e32 v56, v51, v22
	v_fma_f32 v51, v51, v23, -v52
	v_fmac_f32_e32 v54, v47, v26
	v_sub_f32_e32 v2, v28, v40
	v_sub_f32_e32 v3, v29, v3
	;; [unrolled: 1-line block ×3, first 2 shown]
	v_fma_f32 v41, v47, v27, -v18
	v_fmac_f32_e32 v58, v49, v24
	v_fma_f32 v49, v49, v25, -v50
	v_sub_f32_e32 v17, v31, v17
	v_sub_f32_e32 v24, v34, v46
	;; [unrolled: 1-line block ×5, first 2 shown]
	v_fma_f32 v18, v28, 2.0, -v2
	v_fma_f32 v19, v29, 2.0, -v3
	v_sub_f32_e32 v28, v36, v56
	v_sub_f32_e32 v29, v37, v51
	;; [unrolled: 1-line block ×4, first 2 shown]
	v_fma_f32 v20, v30, 2.0, -v16
	v_fma_f32 v21, v31, 2.0, -v17
	;; [unrolled: 1-line block ×4, first 2 shown]
	v_sub_f32_e32 v34, v38, v58
	v_sub_f32_e32 v35, v39, v49
	v_fma_f32 v26, v32, 2.0, -v22
	v_fma_f32 v27, v33, 2.0, -v23
	;; [unrolled: 1-line block ×8, first 2 shown]
	ds_write2_b64 v102, v[18:19], v[2:3] offset1:17
	ds_write2_b64 v106, v[20:21], v[16:17] offset1:17
	;; [unrolled: 1-line block ×7, first 2 shown]
	s_waitcnt lgkmcnt(0)
	s_barrier
	buffer_gl0_inv
	ds_read2_b64 v[0:3], v99 offset0:68 offset1:102
	ds_read2_b64 v[16:19], v99 offset0:136 offset1:170
	;; [unrolled: 1-line block ×6, first 2 shown]
	ds_read2_b64 v[36:39], v99 offset1:34
	s_waitcnt lgkmcnt(0)
	s_barrier
	buffer_gl0_inv
	v_mul_f32_e32 v40, v13, v1
	v_mul_f32_e32 v41, v13, v0
	;; [unrolled: 1-line block ×5, first 2 shown]
	v_fmac_f32_e32 v40, v12, v0
	v_fma_f32 v0, v12, v1, -v41
	v_fma_f32 v1, v14, v17, -v45
	v_mul_f32_e32 v17, v9, v20
	v_mul_f32_e32 v41, v11, v25
	v_fmac_f32_e32 v43, v14, v16
	v_mul_f32_e32 v16, v9, v21
	v_mul_f32_e32 v45, v11, v24
	v_fma_f32 v17, v8, v21, -v17
	v_fmac_f32_e32 v41, v10, v24
	v_fmac_f32_e32 v46, v4, v28
	v_mul_f32_e32 v21, v5, v28
	v_mul_f32_e32 v24, v7, v33
	;; [unrolled: 1-line block ×4, first 2 shown]
	v_fmac_f32_e32 v16, v8, v20
	v_fma_f32 v20, v10, v25, -v45
	v_mul_f32_e32 v25, v7, v32
	v_fma_f32 v21, v4, v29, -v21
	v_fmac_f32_e32 v24, v6, v32
	v_fmac_f32_e32 v28, v12, v2
	v_fma_f32 v29, v12, v3, -v13
	v_mul_f32_e32 v32, v15, v19
	v_mul_f32_e32 v2, v15, v18
	;; [unrolled: 1-line block ×4, first 2 shown]
	v_fma_f32 v25, v6, v33, -v25
	v_mul_f32_e32 v33, v11, v27
	v_fmac_f32_e32 v32, v14, v18
	v_fma_f32 v14, v14, v19, -v2
	v_fmac_f32_e32 v15, v8, v22
	v_fma_f32 v18, v8, v23, -v3
	v_mul_f32_e32 v2, v11, v26
	v_mul_f32_e32 v19, v5, v31
	;; [unrolled: 1-line block ×5, first 2 shown]
	v_fmac_f32_e32 v33, v10, v26
	v_fma_f32 v23, v10, v27, -v2
	v_fma_f32 v26, v4, v31, -v3
	v_fmac_f32_e32 v22, v6, v34
	v_fma_f32 v27, v6, v35, -v5
	v_add_f32_e32 v2, v40, v24
	v_add_f32_e32 v3, v0, v25
	;; [unrolled: 1-line block ×4, first 2 shown]
	v_sub_f32_e32 v7, v43, v46
	v_sub_f32_e32 v1, v1, v21
	v_add_f32_e32 v8, v16, v41
	v_add_f32_e32 v9, v17, v20
	v_sub_f32_e32 v10, v41, v16
	v_sub_f32_e32 v11, v20, v17
	v_add_f32_e32 v12, v5, v2
	v_add_f32_e32 v13, v6, v3
	v_fmac_f32_e32 v19, v4, v30
	v_sub_f32_e32 v4, v40, v24
	v_sub_f32_e32 v0, v0, v25
	;; [unrolled: 1-line block ×8, first 2 shown]
	v_add_f32_e32 v20, v10, v7
	v_add_f32_e32 v21, v11, v1
	v_sub_f32_e32 v24, v10, v7
	v_sub_f32_e32 v25, v11, v1
	v_add_f32_e32 v8, v8, v12
	v_add_f32_e32 v9, v9, v13
	v_sub_f32_e32 v10, v4, v10
	v_sub_f32_e32 v11, v0, v11
	;; [unrolled: 1-line block ×4, first 2 shown]
	v_add_f32_e32 v4, v20, v4
	v_add_f32_e32 v13, v21, v0
	;; [unrolled: 1-line block ×4, first 2 shown]
	v_mul_f32_e32 v2, 0x3f4a47b2, v2
	v_mul_f32_e32 v3, 0x3f4a47b2, v3
	;; [unrolled: 1-line block ×8, first 2 shown]
	v_fmamk_f32 v8, v8, 0xbf955555, v0
	v_fmamk_f32 v9, v9, 0xbf955555, v1
	;; [unrolled: 1-line block ×4, first 2 shown]
	v_fma_f32 v20, 0x3f3bfb3b, v16, -v20
	v_fma_f32 v21, 0x3f3bfb3b, v17, -v21
	;; [unrolled: 1-line block ×4, first 2 shown]
	v_fmamk_f32 v16, v10, 0xbeae86e6, v24
	v_fmamk_f32 v17, v11, 0xbeae86e6, v25
	v_fma_f32 v24, 0xbf5ff5aa, v7, -v24
	v_fma_f32 v12, 0xbf5ff5aa, v12, -v25
	;; [unrolled: 1-line block ×4, first 2 shown]
	v_add_f32_e32 v30, v5, v8
	v_add_f32_e32 v31, v6, v9
	;; [unrolled: 1-line block ×4, first 2 shown]
	v_fmac_f32_e32 v16, 0xbee1c552, v4
	v_fmac_f32_e32 v17, 0xbee1c552, v13
	;; [unrolled: 1-line block ×4, first 2 shown]
	v_add_f32_e32 v21, v2, v8
	v_add_f32_e32 v34, v3, v9
	v_fmac_f32_e32 v10, 0xbee1c552, v13
	v_fmac_f32_e32 v25, 0xbee1c552, v4
	v_add_f32_e32 v2, v17, v30
	v_sub_f32_e32 v3, v31, v16
	v_sub_f32_e32 v6, v11, v12
	v_add_f32_e32 v7, v24, v20
	v_add_f32_e32 v8, v12, v11
	v_sub_f32_e32 v9, v20, v24
	v_sub_f32_e32 v12, v30, v17
	v_add_f32_e32 v13, v16, v31
	v_add_f32_e32 v16, v28, v22
	;; [unrolled: 1-line block ×3, first 2 shown]
	v_sub_f32_e32 v20, v28, v22
	v_add_f32_e32 v22, v32, v19
	v_add_f32_e32 v24, v14, v26
	;; [unrolled: 1-line block ×3, first 2 shown]
	v_sub_f32_e32 v5, v34, v25
	v_sub_f32_e32 v10, v21, v10
	v_add_f32_e32 v11, v25, v34
	v_sub_f32_e32 v21, v29, v27
	v_sub_f32_e32 v19, v32, v19
	;; [unrolled: 1-line block ×3, first 2 shown]
	v_add_f32_e32 v25, v15, v33
	v_add_f32_e32 v26, v18, v23
	v_sub_f32_e32 v15, v33, v15
	v_sub_f32_e32 v18, v23, v18
	v_add_f32_e32 v23, v22, v16
	v_add_f32_e32 v27, v24, v17
	v_sub_f32_e32 v28, v22, v16
	v_sub_f32_e32 v29, v24, v17
	;; [unrolled: 1-line block ×6, first 2 shown]
	v_add_f32_e32 v30, v15, v19
	v_add_f32_e32 v31, v18, v14
	v_sub_f32_e32 v32, v15, v19
	v_sub_f32_e32 v33, v18, v14
	;; [unrolled: 1-line block ×3, first 2 shown]
	v_add_f32_e32 v23, v25, v23
	v_add_f32_e32 v25, v26, v27
	v_sub_f32_e32 v26, v14, v21
	v_sub_f32_e32 v34, v20, v15
	;; [unrolled: 1-line block ×3, first 2 shown]
	v_add_f32_e32 v20, v30, v20
	v_add_f32_e32 v21, v31, v21
	;; [unrolled: 1-line block ×4, first 2 shown]
	v_mul_f32_e32 v16, 0x3f4a47b2, v16
	v_mul_f32_e32 v17, 0x3f4a47b2, v17
	;; [unrolled: 1-line block ×8, first 2 shown]
	v_fmamk_f32 v23, v23, 0xbf955555, v14
	v_fmamk_f32 v25, v25, 0xbf955555, v15
	;; [unrolled: 1-line block ×4, first 2 shown]
	v_fma_f32 v27, 0x3f3bfb3b, v28, -v27
	v_fma_f32 v30, 0x3f3bfb3b, v29, -v30
	v_fma_f32 v16, 0xbf3bfb3b, v28, -v16
	v_fma_f32 v17, 0xbf3bfb3b, v29, -v17
	v_fmamk_f32 v28, v34, 0xbeae86e6, v31
	v_fmamk_f32 v29, v18, 0xbeae86e6, v32
	v_fma_f32 v31, 0xbf5ff5aa, v19, -v31
	v_fma_f32 v26, 0xbf5ff5aa, v26, -v32
	;; [unrolled: 1-line block ×4, first 2 shown]
	v_add_f32_e32 v34, v22, v23
	v_add_f32_e32 v35, v24, v25
	;; [unrolled: 1-line block ×6, first 2 shown]
	v_fmac_f32_e32 v28, 0xbee1c552, v20
	v_fmac_f32_e32 v29, 0xbee1c552, v21
	;; [unrolled: 1-line block ×6, first 2 shown]
	v_add_f32_e32 v16, v29, v34
	v_sub_f32_e32 v17, v35, v28
	v_add_f32_e32 v18, v33, v27
	v_sub_f32_e32 v19, v25, v32
	v_sub_f32_e32 v20, v22, v26
	v_add_f32_e32 v21, v31, v24
	v_add_f32_e32 v22, v26, v22
	v_sub_f32_e32 v23, v24, v31
	v_sub_f32_e32 v24, v27, v33
	v_add_f32_e32 v25, v32, v25
	v_sub_f32_e32 v26, v34, v29
	v_add_f32_e32 v27, v28, v35
	ds_write2_b64 v99, v[0:1], v[2:3] offset1:34
	ds_write2_b64 v99, v[4:5], v[6:7] offset0:68 offset1:102
	ds_write2_b64 v99, v[8:9], v[10:11] offset0:136 offset1:170
	;; [unrolled: 1-line block ×6, first 2 shown]
	s_waitcnt lgkmcnt(0)
	s_barrier
	buffer_gl0_inv
	ds_read2_b64 v[0:3], v99 offset0:204 offset1:238
	ds_read2_b64 v[4:7], v42 offset0:16 offset1:50
	;; [unrolled: 1-line block ×3, first 2 shown]
	ds_read2_b64 v[12:15], v99 offset1:34
	ds_read2_b64 v[16:19], v99 offset0:68 offset1:102
	ds_read2_b64 v[20:23], v42 offset0:152 offset1:186
	;; [unrolled: 1-line block ×3, first 2 shown]
	s_waitcnt lgkmcnt(6)
	v_mul_f32_e32 v28, v74, v3
	v_mul_f32_e32 v29, v74, v2
	s_waitcnt lgkmcnt(5)
	v_mul_f32_e32 v30, v72, v5
	v_mul_f32_e32 v31, v72, v4
	s_waitcnt lgkmcnt(4)
	v_mul_f32_e32 v32, v62, v11
	v_fmac_f32_e32 v28, v73, v2
	v_fma_f32 v3, v73, v3, -v29
	v_mul_f32_e32 v29, v66, v7
	v_mul_f32_e32 v2, v66, v6
	v_fmac_f32_e32 v30, v71, v4
	v_mul_f32_e32 v4, v70, v8
	v_fma_f32 v5, v71, v5, -v31
	v_mul_f32_e32 v31, v70, v9
	v_fmac_f32_e32 v29, v65, v6
	v_fma_f32 v33, v65, v7, -v2
	v_mul_f32_e32 v2, v62, v10
	v_fma_f32 v34, v69, v9, -v4
	s_waitcnt lgkmcnt(1)
	v_mul_f32_e32 v4, v64, v20
	v_fmac_f32_e32 v31, v69, v8
	v_fmac_f32_e32 v32, v61, v10
	v_mul_f32_e32 v35, v64, v21
	v_mul_f32_e32 v36, v68, v23
	v_fma_f32 v37, v61, v11, -v2
	v_mul_f32_e32 v6, v68, v22
	v_sub_f32_e32 v2, v12, v28
	v_sub_f32_e32 v3, v13, v3
	;; [unrolled: 1-line block ×4, first 2 shown]
	v_fma_f32 v38, v63, v21, -v4
	v_sub_f32_e32 v4, v14, v30
	v_sub_f32_e32 v5, v15, v5
	v_fmac_f32_e32 v35, v63, v20
	v_fmac_f32_e32 v36, v67, v22
	v_fma_f32 v28, v67, v23, -v6
	v_fma_f32 v6, v12, 2.0, -v2
	v_fma_f32 v7, v13, 2.0, -v3
	;; [unrolled: 1-line block ×3, first 2 shown]
	s_waitcnt lgkmcnt(0)
	v_sub_f32_e32 v16, v24, v32
	v_fma_f32 v13, v17, 2.0, -v9
	v_sub_f32_e32 v17, v25, v37
	v_fma_f32 v10, v14, 2.0, -v4
	v_fma_f32 v11, v15, 2.0, -v5
	v_sub_f32_e32 v14, v18, v31
	v_sub_f32_e32 v15, v19, v34
	v_fma_f32 v20, v24, 2.0, -v16
	v_sub_f32_e32 v22, v26, v35
	v_fma_f32 v21, v25, 2.0, -v17
	v_sub_f32_e32 v23, v27, v38
	v_sub_f32_e32 v24, v0, v36
	v_sub_f32_e32 v25, v1, v28
	v_add_nc_u32_e32 v28, 0x400, v108
	v_fma_f32 v18, v18, 2.0, -v14
	v_fma_f32 v19, v19, 2.0, -v15
	;; [unrolled: 1-line block ×6, first 2 shown]
	ds_write2_b64 v108, v[6:7], v[10:11] offset1:34
	ds_write2_b64 v28, v[2:3], v[4:5] offset0:110 offset1:144
	ds_write_b64 v108, v[12:13] offset:544
	ds_write_b64 v113, v[8:9] offset:1904
	;; [unrolled: 1-line block ×10, first 2 shown]
	s_waitcnt lgkmcnt(0)
	s_barrier
	buffer_gl0_inv
	s_and_b32 exec_lo, exec_lo, vcc_lo
	s_cbranch_execz .LBB0_15
; %bb.14:
	global_load_dwordx2 v[0:1], v94, s[12:13]
	ds_read_b64 v[2:3], v108
	s_mov_b32 s0, 0x1135c811
	s_mov_b32 s1, 0x3f6135c8
	v_mad_u64_u32 v[6:7], null, s4, v97, 0
	v_lshl_add_u32 v12, v96, 3, v107
	s_mul_i32 s2, s5, 0xe0
	s_mul_i32 s3, s4, 0xe0
	s_waitcnt vmcnt(0) lgkmcnt(0)
	v_mul_f32_e32 v4, v3, v1
	v_mul_f32_e32 v1, v2, v1
	v_fmac_f32_e32 v4, v2, v0
	v_fma_f32 v2, v0, v3, -v1
	v_cvt_f64_f32_e32 v[0:1], v4
	v_cvt_f64_f32_e32 v[2:3], v2
	v_mad_u64_u32 v[4:5], null, s6, v44, 0
	s_mul_hi_u32 s6, s4, 0xe0
	s_add_i32 s2, s6, s2
	v_mad_u64_u32 v[8:9], null, s7, v44, v[5:6]
	v_mad_u64_u32 v[9:10], null, s5, v97, v[7:8]
	v_mov_b32_e32 v5, v8
	v_mul_f64 v[0:1], v[0:1], s[0:1]
	v_mul_f64 v[2:3], v[2:3], s[0:1]
	v_mov_b32_e32 v7, v9
	v_cvt_f32_f64_e32 v0, v[0:1]
	v_cvt_f32_f64_e32 v1, v[2:3]
	v_lshlrev_b64 v[2:3], 3, v[4:5]
	v_lshlrev_b64 v[4:5], 3, v[6:7]
	v_add_co_u32 v10, vcc_lo, s14, v2
	v_add_co_ci_u32_e32 v11, vcc_lo, s15, v3, vcc_lo
	v_add_co_u32 v4, vcc_lo, v10, v4
	v_add_co_ci_u32_e32 v5, vcc_lo, v11, v5, vcc_lo
	global_store_dwordx2 v[4:5], v[0:1], off
	global_load_dwordx2 v[6:7], v94, s[12:13] offset:224
	ds_read2_b64 v[0:3], v12 offset0:28 offset1:56
	v_add_co_u32 v4, vcc_lo, v4, s3
	v_add_co_ci_u32_e32 v5, vcc_lo, s2, v5, vcc_lo
	s_waitcnt vmcnt(0) lgkmcnt(0)
	v_mul_f32_e32 v8, v1, v7
	v_mul_f32_e32 v7, v0, v7
	v_fmac_f32_e32 v8, v0, v6
	v_fma_f32 v6, v6, v1, -v7
	v_cvt_f64_f32_e32 v[0:1], v8
	v_cvt_f64_f32_e32 v[6:7], v6
	v_mul_f64 v[0:1], v[0:1], s[0:1]
	v_mul_f64 v[6:7], v[6:7], s[0:1]
	v_cvt_f32_f64_e32 v0, v[0:1]
	v_cvt_f32_f64_e32 v1, v[6:7]
	global_store_dwordx2 v[4:5], v[0:1], off
	global_load_dwordx2 v[0:1], v94, s[12:13] offset:448
	v_add_co_u32 v4, vcc_lo, v4, s3
	v_add_co_ci_u32_e32 v5, vcc_lo, s2, v5, vcc_lo
	s_waitcnt vmcnt(0)
	v_mul_f32_e32 v6, v3, v1
	v_mul_f32_e32 v1, v2, v1
	v_fmac_f32_e32 v6, v2, v0
	v_fma_f32 v2, v0, v3, -v1
	v_cvt_f64_f32_e32 v[0:1], v6
	v_cvt_f64_f32_e32 v[2:3], v2
	v_mul_f64 v[0:1], v[0:1], s[0:1]
	v_mul_f64 v[2:3], v[2:3], s[0:1]
	v_cvt_f32_f64_e32 v0, v[0:1]
	v_cvt_f32_f64_e32 v1, v[2:3]
	global_store_dwordx2 v[4:5], v[0:1], off
	global_load_dwordx2 v[6:7], v94, s[12:13] offset:672
	ds_read2_b64 v[0:3], v12 offset0:84 offset1:112
	v_add_co_u32 v4, vcc_lo, v4, s3
	v_add_co_ci_u32_e32 v5, vcc_lo, s2, v5, vcc_lo
	s_waitcnt vmcnt(0) lgkmcnt(0)
	v_mul_f32_e32 v8, v1, v7
	v_mul_f32_e32 v7, v0, v7
	v_fmac_f32_e32 v8, v0, v6
	v_fma_f32 v6, v6, v1, -v7
	v_cvt_f64_f32_e32 v[0:1], v8
	v_cvt_f64_f32_e32 v[6:7], v6
	v_mul_f64 v[0:1], v[0:1], s[0:1]
	v_mul_f64 v[6:7], v[6:7], s[0:1]
	v_cvt_f32_f64_e32 v0, v[0:1]
	v_cvt_f32_f64_e32 v1, v[6:7]
	global_store_dwordx2 v[4:5], v[0:1], off
	global_load_dwordx2 v[0:1], v94, s[12:13] offset:896
	v_add_co_u32 v4, vcc_lo, v4, s3
	v_add_co_ci_u32_e32 v5, vcc_lo, s2, v5, vcc_lo
	s_waitcnt vmcnt(0)
	v_mul_f32_e32 v6, v3, v1
	v_mul_f32_e32 v1, v2, v1
	v_fmac_f32_e32 v6, v2, v0
	v_fma_f32 v2, v0, v3, -v1
	v_cvt_f64_f32_e32 v[0:1], v6
	v_cvt_f64_f32_e32 v[2:3], v2
	v_mul_f64 v[0:1], v[0:1], s[0:1]
	v_mul_f64 v[2:3], v[2:3], s[0:1]
	v_cvt_f32_f64_e32 v0, v[0:1]
	v_cvt_f32_f64_e32 v1, v[2:3]
	;; [unrolled: 31-line block ×3, first 2 shown]
	global_store_dwordx2 v[4:5], v[0:1], off
	global_load_dwordx2 v[6:7], v94, s[12:13] offset:1568
	ds_read2_b64 v[0:3], v12 offset0:196 offset1:224
	v_add_co_u32 v4, vcc_lo, v4, s3
	v_add_co_ci_u32_e32 v5, vcc_lo, s2, v5, vcc_lo
	s_waitcnt vmcnt(0) lgkmcnt(0)
	v_mul_f32_e32 v8, v1, v7
	v_mul_f32_e32 v7, v0, v7
	v_fmac_f32_e32 v8, v0, v6
	v_fma_f32 v6, v6, v1, -v7
	v_cvt_f64_f32_e32 v[0:1], v8
	v_cvt_f64_f32_e32 v[6:7], v6
	v_mul_f64 v[0:1], v[0:1], s[0:1]
	v_mul_f64 v[6:7], v[6:7], s[0:1]
	v_cvt_f32_f64_e32 v0, v[0:1]
	v_cvt_f32_f64_e32 v1, v[6:7]
	global_store_dwordx2 v[4:5], v[0:1], off
	global_load_dwordx2 v[0:1], v94, s[12:13] offset:1792
	v_mad_u64_u32 v[4:5], null, 0x1c0, s4, v[4:5]
	s_waitcnt vmcnt(0)
	v_mul_f32_e32 v6, v3, v1
	v_mul_f32_e32 v1, v2, v1
	v_fmac_f32_e32 v6, v2, v0
	v_fma_f32 v2, v0, v3, -v1
	v_cvt_f64_f32_e32 v[0:1], v6
	v_cvt_f64_f32_e32 v[2:3], v2
	v_mad_u64_u32 v[6:7], null, s4, v95, 0
	v_mad_u64_u32 v[7:8], null, s5, v95, v[7:8]
	v_mul_f64 v[0:1], v[0:1], s[0:1]
	v_mul_f64 v[2:3], v[2:3], s[0:1]
	v_cvt_f32_f64_e32 v0, v[0:1]
	v_cvt_f32_f64_e32 v1, v[2:3]
	v_lshlrev_b64 v[2:3], 3, v[6:7]
	v_add_co_u32 v2, vcc_lo, v10, v2
	v_add_co_ci_u32_e32 v3, vcc_lo, v11, v3, vcc_lo
	global_store_dwordx2 v[2:3], v[0:1], off
	global_load_dwordx2 v[6:7], v94, s[12:13] offset:2016
	v_add_nc_u32_e32 v0, 0x400, v12
	v_add_nc_u32_e32 v12, 0x800, v12
	ds_read2_b64 v[0:3], v0 offset0:124 offset1:152
	s_waitcnt vmcnt(0) lgkmcnt(0)
	v_mul_f32_e32 v8, v1, v7
	v_mul_f32_e32 v7, v0, v7
	v_fmac_f32_e32 v8, v0, v6
	v_fma_f32 v6, v6, v1, -v7
	v_cvt_f64_f32_e32 v[0:1], v8
	v_cvt_f64_f32_e32 v[6:7], v6
	v_mul_f64 v[0:1], v[0:1], s[0:1]
	v_mul_f64 v[6:7], v[6:7], s[0:1]
	v_cvt_f32_f64_e32 v0, v[0:1]
	v_cvt_f32_f64_e32 v1, v[6:7]
	v_mad_u64_u32 v[5:6], null, 0x1c0, s5, v[5:6]
	v_add_co_u32 v6, s6, s12, v94
	v_add_co_ci_u32_e64 v7, null, s13, 0, s6
	v_add_co_u32 v6, vcc_lo, 0x800, v6
	v_add_co_ci_u32_e32 v7, vcc_lo, 0, v7, vcc_lo
	global_store_dwordx2 v[4:5], v[0:1], off
	global_load_dwordx2 v[0:1], v[6:7], off offset:192
	v_add_co_u32 v4, vcc_lo, v4, s3
	v_add_co_ci_u32_e32 v5, vcc_lo, s2, v5, vcc_lo
	s_waitcnt vmcnt(0)
	v_mul_f32_e32 v8, v3, v1
	v_mul_f32_e32 v1, v2, v1
	v_fmac_f32_e32 v8, v2, v0
	v_fma_f32 v2, v0, v3, -v1
	v_cvt_f64_f32_e32 v[0:1], v8
	v_cvt_f64_f32_e32 v[2:3], v2
	v_mul_f64 v[0:1], v[0:1], s[0:1]
	v_mul_f64 v[2:3], v[2:3], s[0:1]
	v_cvt_f32_f64_e32 v0, v[0:1]
	v_cvt_f32_f64_e32 v1, v[2:3]
	global_store_dwordx2 v[4:5], v[0:1], off
	global_load_dwordx2 v[8:9], v[6:7], off offset:416
	ds_read2_b64 v[0:3], v12 offset0:52 offset1:80
	v_add_co_u32 v4, vcc_lo, v4, s3
	v_add_co_ci_u32_e32 v5, vcc_lo, s2, v5, vcc_lo
	s_waitcnt vmcnt(0) lgkmcnt(0)
	v_mul_f32_e32 v13, v1, v9
	v_mul_f32_e32 v9, v0, v9
	v_fmac_f32_e32 v13, v0, v8
	v_fma_f32 v8, v8, v1, -v9
	v_cvt_f64_f32_e32 v[0:1], v13
	v_cvt_f64_f32_e32 v[8:9], v8
	v_mul_f64 v[0:1], v[0:1], s[0:1]
	v_mul_f64 v[8:9], v[8:9], s[0:1]
	v_cvt_f32_f64_e32 v0, v[0:1]
	v_cvt_f32_f64_e32 v1, v[8:9]
	global_store_dwordx2 v[4:5], v[0:1], off
	global_load_dwordx2 v[0:1], v[6:7], off offset:640
	v_add_co_u32 v4, vcc_lo, v4, s3
	v_add_co_ci_u32_e32 v5, vcc_lo, s2, v5, vcc_lo
	s_waitcnt vmcnt(0)
	v_mul_f32_e32 v8, v3, v1
	v_mul_f32_e32 v1, v2, v1
	v_fmac_f32_e32 v8, v2, v0
	v_fma_f32 v2, v0, v3, -v1
	v_cvt_f64_f32_e32 v[0:1], v8
	v_cvt_f64_f32_e32 v[2:3], v2
	v_mul_f64 v[0:1], v[0:1], s[0:1]
	v_mul_f64 v[2:3], v[2:3], s[0:1]
	v_cvt_f32_f64_e32 v0, v[0:1]
	v_cvt_f32_f64_e32 v1, v[2:3]
	global_store_dwordx2 v[4:5], v[0:1], off
	global_load_dwordx2 v[8:9], v[6:7], off offset:864
	ds_read2_b64 v[0:3], v12 offset0:108 offset1:136
	v_add_co_u32 v4, vcc_lo, v4, s3
	v_add_co_ci_u32_e32 v5, vcc_lo, s2, v5, vcc_lo
	s_waitcnt vmcnt(0) lgkmcnt(0)
	v_mul_f32_e32 v13, v1, v9
	v_mul_f32_e32 v9, v0, v9
	v_fmac_f32_e32 v13, v0, v8
	v_fma_f32 v8, v8, v1, -v9
	v_cvt_f64_f32_e32 v[0:1], v13
	v_cvt_f64_f32_e32 v[8:9], v8
	v_mul_f64 v[0:1], v[0:1], s[0:1]
	v_mul_f64 v[8:9], v[8:9], s[0:1]
	v_cvt_f32_f64_e32 v0, v[0:1]
	v_cvt_f32_f64_e32 v1, v[8:9]
	;; [unrolled: 31-line block ×3, first 2 shown]
	v_lshlrev_b32_e32 v6, 3, v93
	global_store_dwordx2 v[4:5], v[0:1], off
	global_load_dwordx2 v[0:1], v6, s[12:13]
	s_waitcnt vmcnt(0)
	v_mul_f32_e32 v4, v3, v1
	v_mul_f32_e32 v1, v2, v1
	v_fmac_f32_e32 v4, v2, v0
	v_fma_f32 v2, v0, v3, -v1
	v_cvt_f64_f32_e32 v[0:1], v4
	v_cvt_f64_f32_e32 v[2:3], v2
	v_mad_u64_u32 v[4:5], null, s4, v93, 0
	v_mad_u64_u32 v[5:6], null, s5, v93, v[5:6]
	v_mul_f64 v[0:1], v[0:1], s[0:1]
	v_mul_f64 v[2:3], v[2:3], s[0:1]
	v_cvt_f32_f64_e32 v0, v[0:1]
	v_cvt_f32_f64_e32 v1, v[2:3]
	v_lshlrev_b64 v[2:3], 3, v[4:5]
	v_add_co_u32 v2, vcc_lo, v10, v2
	v_add_co_ci_u32_e32 v3, vcc_lo, v11, v3, vcc_lo
	global_store_dwordx2 v[2:3], v[0:1], off
.LBB0_15:
	s_endpgm
	.section	.rodata,"a",@progbits
	.p2align	6, 0x0
	.amdhsa_kernel bluestein_single_back_len476_dim1_sp_op_CI_CI
		.amdhsa_group_segment_fixed_size 11424
		.amdhsa_private_segment_fixed_size 0
		.amdhsa_kernarg_size 104
		.amdhsa_user_sgpr_count 6
		.amdhsa_user_sgpr_private_segment_buffer 1
		.amdhsa_user_sgpr_dispatch_ptr 0
		.amdhsa_user_sgpr_queue_ptr 0
		.amdhsa_user_sgpr_kernarg_segment_ptr 1
		.amdhsa_user_sgpr_dispatch_id 0
		.amdhsa_user_sgpr_flat_scratch_init 0
		.amdhsa_user_sgpr_private_segment_size 0
		.amdhsa_wavefront_size32 1
		.amdhsa_uses_dynamic_stack 0
		.amdhsa_system_sgpr_private_segment_wavefront_offset 0
		.amdhsa_system_sgpr_workgroup_id_x 1
		.amdhsa_system_sgpr_workgroup_id_y 0
		.amdhsa_system_sgpr_workgroup_id_z 0
		.amdhsa_system_sgpr_workgroup_info 0
		.amdhsa_system_vgpr_workitem_id 0
		.amdhsa_next_free_vgpr 201
		.amdhsa_next_free_sgpr 16
		.amdhsa_reserve_vcc 1
		.amdhsa_reserve_flat_scratch 0
		.amdhsa_float_round_mode_32 0
		.amdhsa_float_round_mode_16_64 0
		.amdhsa_float_denorm_mode_32 3
		.amdhsa_float_denorm_mode_16_64 3
		.amdhsa_dx10_clamp 1
		.amdhsa_ieee_mode 1
		.amdhsa_fp16_overflow 0
		.amdhsa_workgroup_processor_mode 1
		.amdhsa_memory_ordered 1
		.amdhsa_forward_progress 0
		.amdhsa_shared_vgpr_count 0
		.amdhsa_exception_fp_ieee_invalid_op 0
		.amdhsa_exception_fp_denorm_src 0
		.amdhsa_exception_fp_ieee_div_zero 0
		.amdhsa_exception_fp_ieee_overflow 0
		.amdhsa_exception_fp_ieee_underflow 0
		.amdhsa_exception_fp_ieee_inexact 0
		.amdhsa_exception_int_div_zero 0
	.end_amdhsa_kernel
	.text
.Lfunc_end0:
	.size	bluestein_single_back_len476_dim1_sp_op_CI_CI, .Lfunc_end0-bluestein_single_back_len476_dim1_sp_op_CI_CI
                                        ; -- End function
	.section	.AMDGPU.csdata,"",@progbits
; Kernel info:
; codeLenInByte = 19564
; NumSgprs: 18
; NumVgprs: 201
; ScratchSize: 0
; MemoryBound: 0
; FloatMode: 240
; IeeeMode: 1
; LDSByteSize: 11424 bytes/workgroup (compile time only)
; SGPRBlocks: 2
; VGPRBlocks: 25
; NumSGPRsForWavesPerEU: 18
; NumVGPRsForWavesPerEU: 201
; Occupancy: 4
; WaveLimiterHint : 1
; COMPUTE_PGM_RSRC2:SCRATCH_EN: 0
; COMPUTE_PGM_RSRC2:USER_SGPR: 6
; COMPUTE_PGM_RSRC2:TRAP_HANDLER: 0
; COMPUTE_PGM_RSRC2:TGID_X_EN: 1
; COMPUTE_PGM_RSRC2:TGID_Y_EN: 0
; COMPUTE_PGM_RSRC2:TGID_Z_EN: 0
; COMPUTE_PGM_RSRC2:TIDIG_COMP_CNT: 0
	.text
	.p2alignl 6, 3214868480
	.fill 48, 4, 3214868480
	.type	__hip_cuid_d98c21ccadf78f85,@object ; @__hip_cuid_d98c21ccadf78f85
	.section	.bss,"aw",@nobits
	.globl	__hip_cuid_d98c21ccadf78f85
__hip_cuid_d98c21ccadf78f85:
	.byte	0                               ; 0x0
	.size	__hip_cuid_d98c21ccadf78f85, 1

	.ident	"AMD clang version 19.0.0git (https://github.com/RadeonOpenCompute/llvm-project roc-6.4.0 25133 c7fe45cf4b819c5991fe208aaa96edf142730f1d)"
	.section	".note.GNU-stack","",@progbits
	.addrsig
	.addrsig_sym __hip_cuid_d98c21ccadf78f85
	.amdgpu_metadata
---
amdhsa.kernels:
  - .args:
      - .actual_access:  read_only
        .address_space:  global
        .offset:         0
        .size:           8
        .value_kind:     global_buffer
      - .actual_access:  read_only
        .address_space:  global
        .offset:         8
        .size:           8
        .value_kind:     global_buffer
      - .actual_access:  read_only
        .address_space:  global
        .offset:         16
        .size:           8
        .value_kind:     global_buffer
      - .actual_access:  read_only
        .address_space:  global
        .offset:         24
        .size:           8
        .value_kind:     global_buffer
      - .actual_access:  read_only
        .address_space:  global
        .offset:         32
        .size:           8
        .value_kind:     global_buffer
      - .offset:         40
        .size:           8
        .value_kind:     by_value
      - .address_space:  global
        .offset:         48
        .size:           8
        .value_kind:     global_buffer
      - .address_space:  global
        .offset:         56
        .size:           8
        .value_kind:     global_buffer
      - .address_space:  global
        .offset:         64
        .size:           8
        .value_kind:     global_buffer
      - .address_space:  global
        .offset:         72
        .size:           8
        .value_kind:     global_buffer
      - .offset:         80
        .size:           4
        .value_kind:     by_value
      - .address_space:  global
        .offset:         88
        .size:           8
        .value_kind:     global_buffer
      - .address_space:  global
        .offset:         96
        .size:           8
        .value_kind:     global_buffer
    .group_segment_fixed_size: 11424
    .kernarg_segment_align: 8
    .kernarg_segment_size: 104
    .language:       OpenCL C
    .language_version:
      - 2
      - 0
    .max_flat_workgroup_size: 102
    .name:           bluestein_single_back_len476_dim1_sp_op_CI_CI
    .private_segment_fixed_size: 0
    .sgpr_count:     18
    .sgpr_spill_count: 0
    .symbol:         bluestein_single_back_len476_dim1_sp_op_CI_CI.kd
    .uniform_work_group_size: 1
    .uses_dynamic_stack: false
    .vgpr_count:     201
    .vgpr_spill_count: 0
    .wavefront_size: 32
    .workgroup_processor_mode: 1
amdhsa.target:   amdgcn-amd-amdhsa--gfx1030
amdhsa.version:
  - 1
  - 2
...

	.end_amdgpu_metadata
